;; amdgpu-corpus repo=ROCm/rocFFT kind=compiled arch=gfx1201 opt=O3
	.text
	.amdgcn_target "amdgcn-amd-amdhsa--gfx1201"
	.amdhsa_code_object_version 6
	.protected	bluestein_single_back_len1870_dim1_sp_op_CI_CI ; -- Begin function bluestein_single_back_len1870_dim1_sp_op_CI_CI
	.globl	bluestein_single_back_len1870_dim1_sp_op_CI_CI
	.p2align	8
	.type	bluestein_single_back_len1870_dim1_sp_op_CI_CI,@function
bluestein_single_back_len1870_dim1_sp_op_CI_CI: ; @bluestein_single_back_len1870_dim1_sp_op_CI_CI
; %bb.0:
	s_load_b128 s[8:11], s[0:1], 0x28
	v_mul_u32_u24_e32 v1, 0x15f, v0
	s_mov_b32 s2, exec_lo
	v_mov_b32_e32 v69, 0
	s_delay_alu instid0(VALU_DEP_2) | instskip(NEXT) | instid1(VALU_DEP_1)
	v_lshrrev_b32_e32 v1, 16, v1
	v_add_nc_u32_e32 v68, ttmp9, v1
	s_wait_kmcnt 0x0
	s_delay_alu instid0(VALU_DEP_1)
	v_cmpx_gt_u64_e64 s[8:9], v[68:69]
	s_cbranch_execz .LBB0_23
; %bb.1:
	s_clause 0x1
	s_load_b64 s[8:9], s[0:1], 0x0
	s_load_b64 s[12:13], s[0:1], 0x38
	v_mul_lo_u16 v1, 0xbb, v1
	s_delay_alu instid0(VALU_DEP_1) | instskip(NEXT) | instid1(VALU_DEP_1)
	v_sub_nc_u16 v0, v0, v1
	v_and_b32_e32 v90, 0xffff, v0
	v_cmp_gt_u16_e32 vcc_lo, 0x6e, v0
	s_delay_alu instid0(VALU_DEP_2)
	v_lshlrev_b32_e32 v89, 3, v90
	s_and_saveexec_b32 s3, vcc_lo
	s_cbranch_execz .LBB0_3
; %bb.2:
	s_load_b64 s[4:5], s[0:1], 0x18
	s_delay_alu instid0(VALU_DEP_1)
	v_add_nc_u32_e32 v72, 0xc00, v89
	v_add_nc_u32_e32 v74, 0x1800, v89
	s_wait_kmcnt 0x0
	s_load_b128 s[4:7], s[4:5], 0x0
	s_wait_kmcnt 0x0
	v_mad_co_u64_u32 v[0:1], null, s6, v68, 0
	v_mad_co_u64_u32 v[2:3], null, s4, v90, 0
	s_delay_alu instid0(VALU_DEP_1) | instskip(NEXT) | instid1(VALU_DEP_1)
	v_mad_co_u64_u32 v[4:5], null, s7, v68, v[1:2]
	v_mad_co_u64_u32 v[5:6], null, s5, v90, v[3:4]
	v_mov_b32_e32 v1, v4
	s_mul_u64 s[4:5], s[4:5], 0x370
	s_delay_alu instid0(VALU_DEP_1) | instskip(NEXT) | instid1(VALU_DEP_3)
	v_lshlrev_b64_e32 v[0:1], 3, v[0:1]
	v_mov_b32_e32 v3, v5
	s_delay_alu instid0(VALU_DEP_2) | instskip(NEXT) | instid1(VALU_DEP_2)
	v_add_co_u32 v10, s2, s10, v0
	v_lshlrev_b64_e32 v[2:3], 3, v[2:3]
	s_delay_alu instid0(VALU_DEP_4)
	v_add_co_ci_u32_e64 v11, s2, s11, v1, s2
	s_clause 0xb
	global_load_b64 v[0:1], v89, s[8:9]
	global_load_b64 v[4:5], v89, s[8:9] offset:880
	global_load_b64 v[6:7], v89, s[8:9] offset:1760
	;; [unrolled: 1-line block ×11, first 2 shown]
	v_add_co_u32 v2, s2, v10, v2
	s_wait_alu 0xf1ff
	v_add_co_ci_u32_e64 v3, s2, v11, v3, s2
	s_clause 0x2
	global_load_b64 v[32:33], v89, s[8:9] offset:10560
	global_load_b64 v[34:35], v89, s[8:9] offset:11440
	;; [unrolled: 1-line block ×3, first 2 shown]
	s_wait_alu 0xfffe
	v_add_co_u32 v10, s2, v2, s4
	s_wait_alu 0xf1ff
	v_add_co_ci_u32_e64 v11, s2, s5, v3, s2
	s_delay_alu instid0(VALU_DEP_2) | instskip(SKIP_1) | instid1(VALU_DEP_2)
	v_add_co_u32 v20, s2, v10, s4
	s_wait_alu 0xf1ff
	v_add_co_ci_u32_e64 v21, s2, s5, v11, s2
	s_delay_alu instid0(VALU_DEP_2) | instskip(SKIP_1) | instid1(VALU_DEP_2)
	;; [unrolled: 4-line block ×3, first 2 shown]
	v_add_co_u32 v38, s2, v30, s4
	s_wait_alu 0xf1ff
	v_add_co_ci_u32_e64 v39, s2, s5, v31, s2
	s_clause 0x3
	global_load_b64 v[2:3], v[2:3], off
	global_load_b64 v[10:11], v[10:11], off
	;; [unrolled: 1-line block ×4, first 2 shown]
	v_add_co_u32 v40, s2, v38, s4
	s_wait_alu 0xf1ff
	v_add_co_ci_u32_e64 v41, s2, s5, v39, s2
	global_load_b64 v[38:39], v[38:39], off
	v_add_co_u32 v42, s2, v40, s4
	s_wait_alu 0xf1ff
	v_add_co_ci_u32_e64 v43, s2, s5, v41, s2
	global_load_b64 v[40:41], v[40:41], off
	;; [unrolled: 4-line block ×11, first 2 shown]
	v_add_co_u32 v62, s2, v60, s4
	s_wait_alu 0xf1ff
	v_add_co_ci_u32_e64 v63, s2, s5, v61, s2
	global_load_b64 v[64:65], v89, s[8:9] offset:13200
	global_load_b64 v[60:61], v[60:61], off
	global_load_b64 v[66:67], v89, s[8:9] offset:14080
	global_load_b64 v[62:63], v[62:63], off
	v_add_nc_u32_e32 v71, 0x400, v89
	s_wait_loadcnt 0x12
	v_mul_f32_e32 v69, v3, v1
	v_mul_f32_e32 v70, v2, v1
	v_add_nc_u32_e32 v76, 0x2800, v89
	s_wait_loadcnt 0x11
	v_mul_f32_e32 v1, v11, v5
	v_fmac_f32_e32 v69, v2, v0
	v_fma_f32 v70, v3, v0, -v70
	s_wait_loadcnt 0x10
	v_dual_mul_f32 v0, v10, v5 :: v_dual_mul_f32 v3, v21, v7
	v_mul_f32_e32 v7, v20, v7
	s_wait_loadcnt 0xf
	v_mul_f32_e32 v5, v31, v9
	v_mul_f32_e32 v9, v30, v9
	v_fmac_f32_e32 v1, v10, v4
	v_fma_f32 v2, v11, v4, -v0
	s_wait_loadcnt 0xe
	v_dual_mul_f32 v0, v39, v13 :: v_dual_fmac_f32 v3, v20, v6
	v_fma_f32 v4, v21, v6, -v7
	v_fmac_f32_e32 v5, v30, v8
	v_fma_f32 v6, v31, v8, -v9
	v_mul_f32_e32 v7, v38, v13
	ds_store_2addr_b64 v89, v[69:70], v[1:2] offset1:110
	s_wait_loadcnt 0xd
	v_dual_mul_f32 v2, v41, v15 :: v_dual_add_nc_u32 v73, 0x1400, v89
	v_fmac_f32_e32 v0, v38, v12
	ds_store_2addr_b64 v71, v[3:4], v[5:6] offset0:92 offset1:202
	v_fma_f32 v1, v39, v12, -v7
	s_wait_loadcnt 0xc
	v_mul_f32_e32 v4, v43, v17
	s_wait_loadcnt 0xb
	v_dual_mul_f32 v5, v42, v17 :: v_dual_mul_f32 v6, v45, v19
	v_mul_f32_e32 v7, v44, v19
	v_add_nc_u32_e32 v77, 0x3000, v89
	v_dual_mul_f32 v3, v40, v15 :: v_dual_fmac_f32 v4, v42, v16
	s_delay_alu instid0(VALU_DEP_4)
	v_fma_f32 v5, v43, v16, -v5
	v_fmac_f32_e32 v6, v44, v18
	v_fma_f32 v7, v45, v18, -v7
	v_dual_fmac_f32 v2, v40, v14 :: v_dual_add_nc_u32 v75, 0x2000, v89
	s_wait_loadcnt 0xa
	v_mul_f32_e32 v8, v47, v23
	ds_store_2addr_b64 v73, v[4:5], v[6:7] offset0:20 offset1:130
	s_wait_loadcnt 0x7
	v_mul_f32_e32 v4, v53, v29
	v_fma_f32 v3, v41, v14, -v3
	v_mul_f32_e32 v9, v46, v23
	v_fmac_f32_e32 v8, v46, v22
	s_delay_alu instid0(VALU_DEP_4)
	v_fmac_f32_e32 v4, v52, v28
	ds_store_2addr_b64 v72, v[0:1], v[2:3] offset0:56 offset1:166
	v_mul_f32_e32 v0, v49, v25
	v_dual_mul_f32 v1, v48, v25 :: v_dual_mul_f32 v2, v51, v27
	s_wait_loadcnt 0x5
	v_mul_f32_e32 v10, v57, v35
	v_mul_f32_e32 v11, v56, v35
	v_dual_mul_f32 v3, v50, v27 :: v_dual_mul_f32 v6, v55, v33
	v_mul_f32_e32 v5, v52, v29
	s_wait_loadcnt 0x4
	v_mul_f32_e32 v12, v59, v37
	v_dual_mul_f32 v7, v54, v33 :: v_dual_fmac_f32 v10, v56, v34
	v_mul_f32_e32 v13, v58, v37
	s_wait_loadcnt 0x0
	v_dual_mul_f32 v14, v61, v65 :: v_dual_mul_f32 v17, v62, v67
	v_dual_fmac_f32 v12, v58, v36 :: v_dual_mul_f32 v15, v60, v65
	v_mul_f32_e32 v16, v63, v67
	v_fma_f32 v9, v47, v22, -v9
	v_fmac_f32_e32 v0, v48, v24
	v_fma_f32 v1, v49, v24, -v1
	v_fmac_f32_e32 v2, v50, v26
	;; [unrolled: 2-line block ×3, first 2 shown]
	v_fma_f32 v5, v53, v28, -v5
	v_fma_f32 v7, v55, v32, -v7
	;; [unrolled: 1-line block ×4, first 2 shown]
	v_fmac_f32_e32 v14, v60, v64
	v_fma_f32 v15, v61, v64, -v15
	v_fmac_f32_e32 v16, v62, v66
	v_fma_f32 v17, v63, v66, -v17
	ds_store_2addr_b64 v74, v[8:9], v[0:1] offset0:112 offset1:222
	ds_store_2addr_b64 v75, v[2:3], v[4:5] offset0:76 offset1:186
	;; [unrolled: 1-line block ×4, first 2 shown]
	ds_store_b64 v89, v[16:17] offset:14080
.LBB0_3:
	s_or_b32 exec_lo, exec_lo, s3
	s_load_b64 s[2:3], s[0:1], 0x20
	v_mov_b32_e32 v12, 0
	v_mov_b32_e32 v13, 0
	global_wb scope:SCOPE_SE
	s_wait_dscnt 0x0
	s_wait_kmcnt 0x0
	s_barrier_signal -1
	s_barrier_wait -1
	global_inv scope:SCOPE_SE
                                        ; implicit-def: $vgpr30
                                        ; implicit-def: $vgpr24
                                        ; implicit-def: $vgpr20
                                        ; implicit-def: $vgpr16
                                        ; implicit-def: $vgpr8
                                        ; implicit-def: $vgpr42
                                        ; implicit-def: $vgpr34
                                        ; implicit-def: $vgpr38
	s_and_saveexec_b32 s4, vcc_lo
	s_cbranch_execz .LBB0_5
; %bb.4:
	v_add_nc_u32_e32 v0, 0x400, v89
	v_add_nc_u32_e32 v1, 0xc00, v89
	v_add_nc_u32_e32 v2, 0x1400, v89
	ds_load_2addr_b64 v[12:15], v89 offset1:110
	v_add_nc_u32_e32 v3, 0x2800, v89
	ds_load_2addr_b64 v[36:39], v0 offset0:92 offset1:202
	ds_load_2addr_b64 v[32:35], v1 offset0:56 offset1:166
	v_add_nc_u32_e32 v0, 0x1800, v89
	v_add_nc_u32_e32 v1, 0x2000, v89
	;; [unrolled: 1-line block ×3, first 2 shown]
	ds_load_2addr_b64 v[40:43], v2 offset0:20 offset1:130
	ds_load_2addr_b64 v[28:31], v0 offset0:112 offset1:222
	;; [unrolled: 1-line block ×5, first 2 shown]
	ds_load_b64 v[8:9], v89 offset:14080
.LBB0_5:
	s_wait_alu 0xfffe
	s_or_b32 exec_lo, exec_lo, s4
	s_wait_dscnt 0x0
	v_dual_sub_f32 v44, v15, v9 :: v_dual_sub_f32 v45, v14, v8
	v_dual_add_f32 v46, v8, v14 :: v_dual_add_f32 v47, v9, v15
	s_delay_alu instid0(VALU_DEP_2) | instskip(NEXT) | instid1(VALU_DEP_3)
	v_dual_sub_f32 v110, v37, v19 :: v_dual_mul_f32 v75, 0xbf65296c, v44
	v_dual_mul_f32 v58, 0xbf2c7751, v44 :: v_dual_mul_f32 v61, 0xbf2c7751, v45
	v_dual_mul_f32 v52, 0xbeb8f4ab, v44 :: v_dual_mul_f32 v53, 0xbeb8f4ab, v45
	v_dual_sub_f32 v118, v39, v17 :: v_dual_sub_f32 v119, v38, v16
	s_delay_alu instid0(VALU_DEP_3) | instskip(NEXT) | instid1(VALU_DEP_4)
	v_fma_f32 v3, 0x3f3d2fb0, v47, -v61
	v_fmamk_f32 v2, v46, 0x3f3d2fb0, v58
	s_delay_alu instid0(VALU_DEP_4) | instskip(SKIP_1) | instid1(VALU_DEP_3)
	v_fma_f32 v1, 0x3f6eb680, v47, -v53
	v_dual_fmamk_f32 v0, v46, 0x3f6eb680, v52 :: v_dual_sub_f32 v111, v36, v18
	v_dual_add_f32 v3, v3, v13 :: v_dual_add_f32 v2, v2, v12
	s_delay_alu instid0(VALU_DEP_2) | instskip(SKIP_1) | instid1(VALU_DEP_4)
	v_dual_add_f32 v1, v1, v13 :: v_dual_add_f32 v0, v0, v12
	v_dual_add_f32 v49, v19, v37 :: v_dual_add_f32 v48, v18, v36
	v_mul_f32_e32 v57, 0xbf2c7751, v111
	v_dual_mul_f32 v64, 0xbf7ee86f, v110 :: v_dual_mul_f32 v67, 0xbf7ee86f, v111
	v_dual_fmamk_f32 v4, v46, 0x3ee437d1, v75 :: v_dual_add_f32 v51, v17, v39
	s_delay_alu instid0(VALU_DEP_3) | instskip(SKIP_1) | instid1(VALU_DEP_4)
	v_fma_f32 v6, 0x3f3d2fb0, v49, -v57
	v_mul_f32_e32 v54, 0xbf2c7751, v110
	v_fmamk_f32 v7, v48, 0x3dbcf732, v64
	v_dual_mul_f32 v59, 0xbf65296c, v118 :: v_dual_mul_f32 v60, 0xbf65296c, v119
	v_dual_mul_f32 v76, 0xbf4c4adb, v118 :: v_dual_sub_f32 v125, v33, v23
	v_sub_f32_e32 v128, v32, v22
	v_fma_f32 v10, 0x3dbcf732, v49, -v67
	v_add_f32_e32 v1, v6, v1
	v_dual_fmamk_f32 v5, v48, 0x3f3d2fb0, v54 :: v_dual_add_f32 v2, v7, v2
	v_dual_mul_f32 v78, 0xbf4c4adb, v119 :: v_dual_add_f32 v55, v22, v32
	v_fma_f32 v7, 0x3ee437d1, v51, -v60
	v_mul_f32_e32 v83, 0xbe3c28d5, v125
	v_dual_add_f32 v56, v23, v33 :: v_dual_mul_f32 v87, 0xbe3c28d5, v128
	v_dual_mul_f32 v66, 0xbf7ee86f, v128 :: v_dual_add_f32 v63, v21, v35
	v_dual_add_f32 v4, v4, v12 :: v_dual_add_f32 v3, v10, v3
	v_dual_mul_f32 v80, 0xbf4c4adb, v110 :: v_dual_add_f32 v1, v7, v1
	v_fma_f32 v11, 0xbf1a4643, v51, -v78
	v_add_f32_e32 v50, v16, v38
	v_fma_f32 v7, 0x3dbcf732, v56, -v66
	v_dual_add_f32 v0, v5, v0 :: v_dual_mul_f32 v85, 0x3e3c28d5, v118
	s_delay_alu instid0(VALU_DEP_3) | instskip(NEXT) | instid1(VALU_DEP_3)
	v_dual_add_f32 v3, v11, v3 :: v_dual_fmamk_f32 v6, v50, 0x3ee437d1, v59
	v_add_f32_e32 v1, v7, v1
	v_fmamk_f32 v5, v48, 0xbf1a4643, v80
	v_fma_f32 v11, 0xbf7ba420, v56, -v87
	v_fmamk_f32 v10, v50, 0xbf1a4643, v76
	v_add_f32_e32 v0, v6, v0
	v_sub_f32_e32 v134, v35, v21
	v_dual_add_f32 v4, v5, v4 :: v_dual_fmamk_f32 v5, v50, 0xbf7ba420, v85
	s_delay_alu instid0(VALU_DEP_4) | instskip(SKIP_2) | instid1(VALU_DEP_4)
	v_dual_add_f32 v3, v11, v3 :: v_dual_add_f32 v2, v10, v2
	v_mul_f32_e32 v65, 0xbf7ee86f, v125
	v_dual_fmamk_f32 v10, v55, 0xbf7ba420, v83 :: v_dual_add_f32 v71, v26, v40
	v_dual_add_f32 v4, v5, v4 :: v_dual_mul_f32 v95, 0x3f763a35, v125
	v_sub_f32_e32 v138, v34, v20
	s_delay_alu instid0(VALU_DEP_3) | instskip(SKIP_1) | instid1(VALU_DEP_4)
	v_add_f32_e32 v2, v10, v2
	v_dual_fmamk_f32 v6, v55, 0x3dbcf732, v65 :: v_dual_sub_f32 v143, v41, v27
	v_fmamk_f32 v5, v55, 0xbe8c1d8e, v95
	s_delay_alu instid0(VALU_DEP_4) | instskip(NEXT) | instid1(VALU_DEP_3)
	v_mul_f32_e32 v79, 0xbf763a35, v138
	v_dual_mul_f32 v77, 0xbf763a35, v134 :: v_dual_add_f32 v0, v6, v0
	v_dual_mul_f32 v99, 0x3f2c7751, v134 :: v_dual_add_f32 v72, v27, v41
	s_delay_alu instid0(VALU_DEP_4) | instskip(NEXT) | instid1(VALU_DEP_4)
	v_add_f32_e32 v4, v5, v4
	v_fma_f32 v7, 0xbe8c1d8e, v63, -v79
	v_sub_f32_e32 v156, v28, v30
	v_dual_mul_f32 v84, 0xbf4c4adb, v143 :: v_dual_sub_f32 v153, v42, v24
	v_dual_mul_f32 v104, 0xbeb8f4ab, v143 :: v_dual_add_f32 v93, v31, v29
	s_delay_alu instid0(VALU_DEP_4) | instskip(SKIP_3) | instid1(VALU_DEP_3)
	v_add_f32_e32 v1, v7, v1
	v_mul_f32_e32 v97, 0x3f06c442, v138
	v_dual_mul_f32 v108, 0x3eb8f4ab, v156 :: v_dual_add_f32 v81, v24, v42
	v_dual_add_f32 v88, v30, v28 :: v_dual_mul_f32 v135, 0xbf7ee86f, v45
	v_fma_f32 v11, 0xbf59a7d5, v63, -v97
	v_add_f32_e32 v62, v20, v34
	v_add_f32_e32 v82, v25, v43
	v_fma_f32 v73, 0x3f6eb680, v93, -v108
	s_delay_alu instid0(VALU_DEP_4) | instskip(NEXT) | instid1(VALU_DEP_4)
	v_dual_mul_f32 v96, 0xbf06c442, v153 :: v_dual_add_f32 v3, v11, v3
	v_dual_sub_f32 v144, v40, v26 :: v_dual_fmamk_f32 v5, v62, 0x3f3d2fb0, v99
	v_sub_f32_e32 v149, v43, v25
	v_mul_f32_e32 v105, 0x3f65296c, v153
	v_dual_mul_f32 v112, 0xbf65296c, v45 :: v_dual_mul_f32 v127, 0xbf65296c, v134
	s_delay_alu instid0(VALU_DEP_4) | instskip(NEXT) | instid1(VALU_DEP_4)
	v_mul_f32_e32 v86, 0xbf4c4adb, v144
	v_dual_add_f32 v4, v5, v4 :: v_dual_mul_f32 v103, 0x3f65296c, v149
	v_fmamk_f32 v5, v71, 0x3f6eb680, v104
	v_mul_f32_e32 v116, 0x3f2c7751, v138
	s_delay_alu instid0(VALU_DEP_4) | instskip(SKIP_3) | instid1(VALU_DEP_4)
	v_fma_f32 v7, 0xbf1a4643, v72, -v86
	v_mul_f32_e32 v92, 0x3f06c442, v134
	v_mul_f32_e32 v114, 0x3e3c28d5, v119
	;; [unrolled: 1-line block ×3, first 2 shown]
	v_dual_mul_f32 v126, 0xbf7ee86f, v44 :: v_dual_add_f32 v1, v7, v1
	s_delay_alu instid0(VALU_DEP_4) | instskip(SKIP_3) | instid1(VALU_DEP_3)
	v_fmamk_f32 v10, v62, 0xbf59a7d5, v92
	v_fma_f32 v7, 0xbf59a7d5, v82, -v96
	v_mul_f32_e32 v98, 0x3f763a35, v143
	v_dual_sub_f32 v155, v29, v31 :: v_dual_mul_f32 v94, 0xbf06c442, v149
	v_dual_add_f32 v2, v10, v2 :: v_dual_add_f32 v1, v7, v1
	s_delay_alu instid0(VALU_DEP_3) | instskip(NEXT) | instid1(VALU_DEP_3)
	v_fmamk_f32 v10, v71, 0xbe8c1d8e, v98
	v_mul_f32_e32 v107, 0x3eb8f4ab, v155
	v_mul_f32_e32 v102, 0xbe3c28d5, v156
	v_dual_add_f32 v4, v5, v4 :: v_dual_mul_f32 v101, 0xbe3c28d5, v155
	s_delay_alu instid0(VALU_DEP_4)
	v_add_f32_e32 v2, v10, v2
	v_fma_f32 v10, 0x3ee437d1, v82, -v105
	v_mul_f32_e32 v100, 0x3f763a35, v144
	v_fmamk_f32 v5, v81, 0x3ee437d1, v103
	v_mul_f32_e32 v109, 0xbf06c442, v155
	v_mul_f32_e32 v113, 0xbf4c4adb, v111
	;; [unrolled: 1-line block ×3, first 2 shown]
	v_fma_f32 v11, 0xbe8c1d8e, v72, -v100
	v_fmamk_f32 v6, v62, 0xbe8c1d8e, v77
	v_add_f32_e32 v2, v5, v2
	v_fma_f32 v7, 0xbf1a4643, v49, -v113
	v_mul_f32_e32 v115, 0x3f763a35, v128
	s_delay_alu instid0(VALU_DEP_4) | instskip(SKIP_3) | instid1(VALU_DEP_4)
	v_dual_add_f32 v3, v11, v3 :: v_dual_add_f32 v0, v6, v0
	v_fmamk_f32 v6, v71, 0xbf1a4643, v84
	v_mul_f32_e32 v117, 0xbeb8f4ab, v144
	v_fmamk_f32 v11, v88, 0x3f6eb680, v107
	v_add_f32_e32 v3, v10, v3
	v_fma_f32 v10, 0xbf7ba420, v93, -v102
	v_add_f32_e32 v0, v6, v0
	v_fmamk_f32 v6, v81, 0xbf59a7d5, v94
	v_mul_f32_e32 v120, 0xbf7ee86f, v153
	s_delay_alu instid0(VALU_DEP_4)
	v_dual_mul_f32 v123, 0x3f763a35, v118 :: v_dual_add_f32 v70, v10, v1
	v_fma_f32 v1, 0x3f3d2fb0, v63, -v116
	v_mul_f32_e32 v106, 0xbf7ee86f, v149
	v_add_f32_e32 v0, v6, v0
	v_fma_f32 v6, 0x3ee437d1, v47, -v112
	v_mul_f32_e32 v139, 0x3eb8f4ab, v128
	v_mul_f32_e32 v132, 0x3f4c4adb, v153
	v_dual_fmamk_f32 v5, v81, 0x3dbcf732, v106 :: v_dual_add_f32 v2, v11, v2
	s_delay_alu instid0(VALU_DEP_4) | instskip(SKIP_1) | instid1(VALU_DEP_3)
	v_dual_mul_f32 v137, 0x3f763a35, v119 :: v_dual_add_f32 v6, v6, v13
	v_mul_f32_e32 v121, 0xbf06c442, v156
	v_dual_add_f32 v4, v5, v4 :: v_dual_fmamk_f32 v5, v88, 0xbf7ba420, v101
	v_fma_f32 v11, 0xbf1a4643, v82, -v132
	s_delay_alu instid0(VALU_DEP_4) | instskip(SKIP_1) | instid1(VALU_DEP_4)
	v_add_f32_e32 v6, v7, v6
	v_fma_f32 v7, 0xbf7ba420, v51, -v114
	v_dual_fmamk_f32 v10, v50, 0xbe8c1d8e, v123 :: v_dual_add_f32 v69, v5, v0
	v_fmamk_f32 v5, v88, 0xbf59a7d5, v109
	s_delay_alu instid0(VALU_DEP_3) | instskip(SKIP_3) | instid1(VALU_DEP_3)
	v_dual_mul_f32 v129, 0xbf06c442, v143 :: v_dual_add_f32 v6, v7, v6
	v_fma_f32 v7, 0xbe8c1d8e, v56, -v115
	v_dual_mul_f32 v166, 0xbf763a35, v45 :: v_dual_add_f32 v3, v73, v3
	v_mul_f32_e32 v168, 0x3f06c442, v111
	v_dual_mul_f32 v167, 0x3f2c7751, v119 :: v_dual_add_f32 v0, v7, v6
	v_fma_f32 v6, 0x3f6eb680, v72, -v117
	v_fma_f32 v7, 0x3dbcf732, v82, -v120
	;; [unrolled: 1-line block ×3, first 2 shown]
	s_delay_alu instid0(VALU_DEP_4)
	v_dual_mul_f32 v140, 0xbf65296c, v138 :: v_dual_add_f32 v1, v1, v0
	v_add_f32_e32 v0, v5, v4
	v_fmamk_f32 v4, v46, 0x3dbcf732, v126
	v_fmamk_f32 v5, v48, 0xbf7ba420, v122
	v_add_f32_e32 v73, v73, v13
	v_add_f32_e32 v1, v6, v1
	v_fma_f32 v6, 0x3dbcf732, v47, -v135
	v_add_f32_e32 v4, v4, v12
	v_fma_f32 v74, 0xbf59a7d5, v49, -v168
	s_delay_alu instid0(VALU_DEP_4) | instskip(NEXT) | instid1(VALU_DEP_3)
	v_dual_mul_f32 v150, 0xbf763a35, v44 :: v_dual_add_f32 v1, v7, v1
	v_dual_fmamk_f32 v7, v55, 0x3f6eb680, v124 :: v_dual_add_f32 v4, v5, v4
	v_add_f32_e32 v5, v6, v13
	s_delay_alu instid0(VALU_DEP_4)
	v_add_f32_e32 v73, v74, v73
	v_fma_f32 v74, 0x3f3d2fb0, v51, -v167
	v_mul_f32_e32 v152, 0x3f06c442, v110
	v_add_f32_e32 v4, v10, v4
	v_fma_f32 v10, 0xbf59a7d5, v93, -v121
	v_mul_f32_e32 v136, 0xbe3c28d5, v111
	v_mul_f32_e32 v164, 0xbf65296c, v128
	;; [unrolled: 1-line block ×4, first 2 shown]
	v_add_f32_e32 v1, v10, v1
	v_fma_f32 v6, 0xbf7ba420, v49, -v136
	v_add_f32_e32 v73, v74, v73
	v_fma_f32 v74, 0x3ee437d1, v56, -v164
	v_fmamk_f32 v10, v48, 0xbf59a7d5, v152
	v_mul_f32_e32 v146, 0xbf65296c, v125
	v_add_f32_e32 v5, v6, v5
	v_fma_f32 v6, 0xbe8c1d8e, v51, -v137
	v_dual_mul_f32 v130, 0x3f2c7751, v155 :: v_dual_mul_f32 v141, 0x3f2c7751, v156
	v_dual_mul_f32 v148, 0x3f7ee86f, v143 :: v_dual_mul_f32 v165, 0x3f7ee86f, v144
	s_delay_alu instid0(VALU_DEP_3) | instskip(SKIP_3) | instid1(VALU_DEP_3)
	v_add_f32_e32 v5, v6, v5
	v_fma_f32 v6, 0x3f6eb680, v56, -v139
	v_dual_mul_f32 v142, 0xbf4c4adb, v155 :: v_dual_mul_f32 v173, 0xbf4c4adb, v44
	v_mul_f32_e32 v145, 0xbe3c28d5, v134
	v_dual_mul_f32 v178, 0xbeb8f4ab, v118 :: v_dual_add_f32 v5, v6, v5
	v_fma_f32 v6, 0x3ee437d1, v63, -v140
	v_dual_add_f32 v4, v7, v4 :: v_dual_fmamk_f32 v7, v62, 0x3ee437d1, v127
	v_mul_f32_e32 v187, 0xbe3c28d5, v153
	v_mul_f32_e32 v182, 0xbf4c4adb, v45
	s_delay_alu instid0(VALU_DEP_4)
	v_add_f32_e32 v5, v6, v5
	v_fmamk_f32 v6, v46, 0xbe8c1d8e, v150
	v_add_f32_e32 v4, v7, v4
	v_fmamk_f32 v7, v71, 0xbf59a7d5, v129
	v_mul_f32_e32 v147, 0xbeb8f4ab, v149
	v_fma_f32 v158, 0xbf7ba420, v82, -v187
	v_add_f32_e32 v6, v6, v12
	v_mul_f32_e32 v170, 0xbeb8f4ab, v153
	s_delay_alu instid0(VALU_DEP_4) | instskip(NEXT) | instid1(VALU_DEP_3)
	v_dual_add_f32 v4, v7, v4 :: v_dual_fmamk_f32 v91, v81, 0x3f6eb680, v147
	v_dual_mul_f32 v179, 0xbf06c442, v125 :: v_dual_add_f32 v6, v10, v6
	v_fmamk_f32 v10, v50, 0x3f3d2fb0, v151
	v_mul_f32_e32 v133, 0xbf06c442, v144
	v_mul_f32_e32 v163, 0xbe3c28d5, v138
	;; [unrolled: 1-line block ×3, first 2 shown]
	v_dual_mul_f32 v191, 0x3f65296c, v110 :: v_dual_mul_f32 v202, 0x3f65296c, v111
	v_add_f32_e32 v6, v10, v6
	v_fma_f32 v7, 0xbf59a7d5, v72, -v133
	v_fmamk_f32 v10, v88, 0x3f3d2fb0, v130
	v_mul_f32_e32 v188, 0x3f65296c, v156
	v_mul_f32_e32 v174, 0x3f7ee86f, v134
	s_delay_alu instid0(VALU_DEP_4) | instskip(SKIP_1) | instid1(VALU_DEP_4)
	v_dual_mul_f32 v184, 0xbeb8f4ab, v119 :: v_dual_add_f32 v5, v7, v5
	v_fmamk_f32 v7, v81, 0xbf1a4643, v131
	v_fma_f32 v159, 0x3ee437d1, v93, -v188
	v_fmamk_f32 v154, v48, 0x3ee437d1, v191
	v_dual_mul_f32 v185, 0xbf06c442, v128 :: v_dual_mul_f32 v200, 0xbf06c442, v45
	s_delay_alu instid0(VALU_DEP_4)
	v_add_f32_e32 v4, v7, v4
	v_fmamk_f32 v7, v55, 0x3ee437d1, v146
	v_add_f32_e32 v5, v11, v5
	v_fma_f32 v11, 0x3f3d2fb0, v93, -v141
	v_mul_f32_e32 v180, 0x3f7ee86f, v138
	v_dual_mul_f32 v176, 0xbf2c7751, v143 :: v_dual_mul_f32 v181, 0xbf2c7751, v144
	v_dual_add_f32 v6, v7, v6 :: v_dual_fmamk_f32 v7, v62, 0xbf7ba420, v145
	v_mul_f32_e32 v189, 0xbf06c442, v44
	v_fma_f32 v157, 0x3ee437d1, v49, -v202
	v_dual_mul_f32 v192, 0xbf7ee86f, v118 :: v_dual_mul_f32 v203, 0xbf7ee86f, v119
	s_delay_alu instid0(VALU_DEP_4) | instskip(SKIP_3) | instid1(VALU_DEP_3)
	v_add_f32_e32 v6, v7, v6
	v_fmamk_f32 v7, v71, 0x3dbcf732, v148
	v_dual_mul_f32 v194, 0x3f4c4adb, v125 :: v_dual_mul_f32 v197, 0x3f4c4adb, v128
	v_mul_f32_e32 v195, 0xbeb8f4ab, v134
	v_dual_mul_f32 v190, 0xbe3c28d5, v143 :: v_dual_add_f32 v7, v7, v6
	v_add_f32_e32 v6, v10, v4
	v_fmamk_f32 v10, v88, 0xbf1a4643, v142
	v_mul_f32_e32 v193, 0x3f2c7751, v149
	v_mul_f32_e32 v196, 0xbf763a35, v155
	v_add_f32_e32 v4, v91, v7
	v_add_f32_e32 v7, v11, v5
	;; [unrolled: 1-line block ×3, first 2 shown]
	v_fmamk_f32 v11, v46, 0xbf1a4643, v173
	v_fma_f32 v74, 0xbf1a4643, v47, -v182
	v_add_f32_e32 v4, v10, v4
	v_fma_f32 v10, 0xbf7ba420, v63, -v163
	v_fma_f32 v91, 0x3f6eb680, v82, -v170
	v_add_f32_e32 v11, v11, v12
	v_mul_f32_e32 v175, 0x3f763a35, v110
	s_load_b64 s[10:11], s[0:1], 0x8
	v_add_f32_e32 v5, v10, v5
	v_fma_f32 v10, 0x3dbcf732, v72, -v165
	v_mul_f32_e32 v186, 0x3f65296c, v155
	v_fmamk_f32 v73, v48, 0xbe8c1d8e, v175
	v_mul_f32_e32 v204, 0xbf763a35, v156
	global_wb scope:SCOPE_SE
	v_add_f32_e32 v5, v10, v5
	s_wait_kmcnt 0x0
	s_barrier_signal -1
	v_dual_add_f32 v10, v73, v11 :: v_dual_add_f32 v11, v74, v13
	s_barrier_wait -1
	v_dual_add_f32 v5, v91, v5 :: v_dual_fmamk_f32 v74, v50, 0x3f6eb680, v178
	v_fma_f32 v91, 0xbf1a4643, v93, -v172
	global_inv scope:SCOPE_SE
	v_mul_f32_e32 v199, 0xbe3c28d5, v144
	v_dual_mul_f32 v201, 0x3f2c7751, v153 :: v_dual_add_f32 v10, v74, v10
	v_fmamk_f32 v74, v55, 0xbf59a7d5, v179
	v_add_f32_e32 v5, v91, v5
	v_mul_lo_u16 v91, v90, 17
	s_delay_alu instid0(VALU_DEP_3) | instskip(SKIP_1) | instid1(VALU_DEP_1)
	v_add_f32_e32 v10, v74, v10
	v_fmamk_f32 v74, v62, 0x3dbcf732, v174
	v_dual_mul_f32 v183, 0x3f763a35, v111 :: v_dual_add_f32 v10, v74, v10
	s_delay_alu instid0(VALU_DEP_1) | instskip(NEXT) | instid1(VALU_DEP_1)
	v_fma_f32 v73, 0xbe8c1d8e, v49, -v183
	v_add_f32_e32 v11, v73, v11
	v_fma_f32 v73, 0x3f6eb680, v51, -v184
	s_delay_alu instid0(VALU_DEP_1) | instskip(SKIP_1) | instid1(VALU_DEP_1)
	v_add_f32_e32 v11, v73, v11
	v_fma_f32 v73, 0xbf59a7d5, v56, -v185
	v_add_f32_e32 v11, v73, v11
	v_fma_f32 v73, 0x3dbcf732, v63, -v180
	s_delay_alu instid0(VALU_DEP_1) | instskip(SKIP_1) | instid1(VALU_DEP_1)
	v_add_f32_e32 v11, v73, v11
	v_fma_f32 v73, 0x3f3d2fb0, v72, -v181
	v_add_f32_e32 v11, v73, v11
	v_fmamk_f32 v73, v46, 0xbf59a7d5, v189
	s_delay_alu instid0(VALU_DEP_2) | instskip(NEXT) | instid1(VALU_DEP_2)
	v_add_f32_e32 v11, v158, v11
	v_dual_add_f32 v73, v73, v12 :: v_dual_fmamk_f32 v158, v88, 0x3ee437d1, v186
	s_delay_alu instid0(VALU_DEP_2) | instskip(NEXT) | instid1(VALU_DEP_2)
	v_add_f32_e32 v11, v159, v11
	v_add_f32_e32 v73, v154, v73
	v_fmamk_f32 v154, v50, 0x3dbcf732, v192
	s_delay_alu instid0(VALU_DEP_1) | instskip(NEXT) | instid1(VALU_DEP_1)
	v_dual_add_f32 v73, v154, v73 :: v_dual_fmamk_f32 v154, v55, 0xbf1a4643, v194
	v_add_f32_e32 v73, v154, v73
	v_fmamk_f32 v154, v62, 0x3f6eb680, v195
	s_delay_alu instid0(VALU_DEP_1) | instskip(NEXT) | instid1(VALU_DEP_1)
	v_dual_fmamk_f32 v74, v71, 0x3f3d2fb0, v176 :: v_dual_add_f32 v73, v154, v73
	v_dual_add_f32 v10, v74, v10 :: v_dual_mul_f32 v177, 0xbe3c28d5, v149
	v_fmamk_f32 v154, v71, 0xbf7ba420, v190
	s_delay_alu instid0(VALU_DEP_1) | instskip(NEXT) | instid1(VALU_DEP_1)
	v_dual_add_f32 v73, v154, v73 :: v_dual_fmamk_f32 v154, v81, 0x3f3d2fb0, v193
	v_dual_fmamk_f32 v74, v81, 0xbf7ba420, v177 :: v_dual_add_f32 v73, v154, v73
	s_delay_alu instid0(VALU_DEP_1) | instskip(SKIP_3) | instid1(VALU_DEP_4)
	v_add_f32_e32 v10, v74, v10
	v_fma_f32 v74, 0xbf59a7d5, v47, -v200
	v_fmamk_f32 v154, v88, 0xbe8c1d8e, v196
	v_mul_f32_e32 v198, 0xbeb8f4ab, v138
	v_add_f32_e32 v10, v158, v10
	s_delay_alu instid0(VALU_DEP_4) | instskip(NEXT) | instid1(VALU_DEP_1)
	v_add_f32_e32 v74, v74, v13
	v_dual_add_f32 v73, v154, v73 :: v_dual_add_f32 v74, v157, v74
	v_fma_f32 v157, 0x3dbcf732, v51, -v203
	s_delay_alu instid0(VALU_DEP_1) | instskip(SKIP_1) | instid1(VALU_DEP_1)
	v_add_f32_e32 v74, v157, v74
	v_fma_f32 v157, 0xbf1a4643, v56, -v197
	v_add_f32_e32 v74, v157, v74
	v_fma_f32 v157, 0x3f6eb680, v63, -v198
	s_delay_alu instid0(VALU_DEP_1) | instskip(SKIP_1) | instid1(VALU_DEP_1)
	v_add_f32_e32 v74, v157, v74
	v_fma_f32 v157, 0xbf7ba420, v72, -v199
	v_add_f32_e32 v74, v157, v74
	;; [unrolled: 5-line block ×3, first 2 shown]
	s_and_saveexec_b32 s0, vcc_lo
	s_cbranch_execz .LBB0_7
; %bb.6:
	v_dual_mul_f32 v158, 0xbe3c28d5, v45 :: v_dual_mul_f32 v159, 0xbe3c28d5, v44
	v_mul_f32_e32 v110, 0x3eb8f4ab, v110
	v_mul_f32_e32 v161, 0xbf06c442, v119
	;; [unrolled: 1-line block ×3, first 2 shown]
	v_dual_mul_f32 v209, 0xbe8c1d8e, v46 :: v_dual_mul_f32 v210, 0xbe8c1d8e, v47
	v_fma_f32 v45, 0xbf7ba420, v46, -v159
	v_fmamk_f32 v44, v47, 0xbf7ba420, v158
	v_fma_f32 v119, 0x3f6eb680, v48, -v110
	v_dual_mul_f32 v207, 0x3dbcf732, v46 :: v_dual_mul_f32 v208, 0x3dbcf732, v47
	s_delay_alu instid0(VALU_DEP_4) | instskip(SKIP_2) | instid1(VALU_DEP_3)
	v_dual_add_f32 v45, v45, v12 :: v_dual_mul_f32 v160, 0x3eb8f4ab, v111
	v_mul_f32_e32 v111, 0xbf06c442, v118
	v_dual_mul_f32 v169, 0x3f3d2fb0, v46 :: v_dual_add_f32 v44, v44, v13
	v_add_f32_e32 v45, v119, v45
	v_mul_f32_e32 v118, 0x3f2c7751, v125
	s_delay_alu instid0(VALU_DEP_4) | instskip(SKIP_3) | instid1(VALU_DEP_4)
	v_fma_f32 v119, 0xbf59a7d5, v50, -v111
	v_add_f32_e32 v200, v200, v213
	v_mul_f32_e32 v138, 0xbf4c4adb, v138
	v_add_f32_e32 v166, v166, v210
	v_dual_sub_f32 v150, v209, v150 :: v_dual_add_f32 v45, v119, v45
	v_fmamk_f32 v162, v49, 0x3f6eb680, v160
	v_mul_f32_e32 v171, 0x3f3d2fb0, v47
	v_mul_f32_e32 v119, 0xbf4c4adb, v134
	;; [unrolled: 1-line block ×4, first 2 shown]
	v_add_f32_e32 v44, v162, v44
	v_mul_f32_e32 v162, 0x3f2c7751, v128
	v_fma_f32 v128, 0x3f3d2fb0, v55, -v118
	v_add_f32_e32 v166, v166, v13
	v_fmamk_f32 v213, v82, 0xbe8c1d8e, v144
	s_delay_alu instid0(VALU_DEP_4) | instskip(NEXT) | instid1(VALU_DEP_4)
	v_dual_add_f32 v150, v150, v12 :: v_dual_fmamk_f32 v125, v56, 0x3f3d2fb0, v162
	v_add_f32_e32 v45, v128, v45
	v_fma_f32 v128, 0xbf1a4643, v62, -v119
	v_fmamk_f32 v212, v51, 0xbf59a7d5, v161
	v_dual_mul_f32 v205, 0x3ee437d1, v46 :: v_dual_mul_f32 v206, 0x3ee437d1, v47
	s_delay_alu instid0(VALU_DEP_3) | instskip(NEXT) | instid1(VALU_DEP_3)
	v_dual_sub_f32 v126, v207, v126 :: v_dual_add_f32 v45, v128, v45
	v_dual_mul_f32 v211, 0xbf1a4643, v46 :: v_dual_add_f32 v44, v212, v44
	v_fmamk_f32 v212, v63, 0xbf1a4643, v138
	v_dual_mul_f32 v154, 0x3f6eb680, v46 :: v_dual_mul_f32 v157, 0x3f6eb680, v47
	v_add_f32_e32 v14, v14, v12
	s_delay_alu instid0(VALU_DEP_4) | instskip(SKIP_2) | instid1(VALU_DEP_4)
	v_dual_add_f32 v44, v125, v44 :: v_dual_mul_f32 v125, 0x3f65296c, v143
	v_fmamk_f32 v143, v72, 0x3ee437d1, v134
	v_fmac_f32_e32 v110, 0x3f6eb680, v48
	v_add_f32_e32 v14, v36, v14
	s_delay_alu instid0(VALU_DEP_4) | instskip(SKIP_2) | instid1(VALU_DEP_4)
	v_add_f32_e32 v44, v212, v44
	v_fma_f32 v128, 0x3ee437d1, v71, -v125
	v_add_f32_e32 v15, v15, v13
	v_dual_mul_f32 v209, 0xbf59a7d5, v88 :: v_dual_add_f32 v14, v38, v14
	s_delay_alu instid0(VALU_DEP_4) | instskip(NEXT) | instid1(VALU_DEP_4)
	v_dual_add_f32 v44, v143, v44 :: v_dual_mul_f32 v143, 0x3ee437d1, v49
	v_add_f32_e32 v45, v128, v45
	v_mul_f32_e32 v128, 0xbf763a35, v149
	s_delay_alu instid0(VALU_DEP_4) | instskip(NEXT) | instid1(VALU_DEP_4)
	v_dual_mul_f32 v149, 0x3f7ee86f, v156 :: v_dual_add_f32 v14, v32, v14
	v_add_f32_e32 v156, v202, v143
	v_mul_f32_e32 v153, 0x3dbcf732, v51
	v_mul_f32_e32 v143, 0x3f7ee86f, v155
	s_delay_alu instid0(VALU_DEP_4) | instskip(NEXT) | instid1(VALU_DEP_3)
	v_dual_add_f32 v155, v200, v13 :: v_dual_fmamk_f32 v200, v93, 0x3dbcf732, v149
	v_dual_mul_f32 v212, 0xbf1a4643, v47 :: v_dual_add_f32 v153, v203, v153
	v_fma_f32 v202, 0xbe8c1d8e, v81, -v128
	s_delay_alu instid0(VALU_DEP_3) | instskip(SKIP_2) | instid1(VALU_DEP_3)
	v_add_f32_e32 v155, v156, v155
	v_dual_mul_f32 v203, 0x3f3d2fb0, v48 :: v_dual_fmac_f32 v118, 0x3f3d2fb0, v55
	v_sub_f32_e32 v173, v211, v173
	v_dual_add_f32 v202, v202, v45 :: v_dual_add_f32 v153, v153, v155
	v_mul_f32_e32 v155, 0x3ee437d1, v48
	v_mul_f32_e32 v156, 0xbf59a7d5, v46
	;; [unrolled: 1-line block ×3, first 2 shown]
	v_add_f32_e32 v135, v135, v208
	v_add_f32_e32 v173, v173, v12
	s_delay_alu instid0(VALU_DEP_4) | instskip(NEXT) | instid1(VALU_DEP_3)
	v_dual_sub_f32 v155, v155, v191 :: v_dual_sub_f32 v156, v156, v189
	v_dual_add_f32 v44, v213, v44 :: v_dual_add_f32 v135, v135, v13
	v_mul_f32_e32 v207, 0x3f3d2fb0, v88
	s_delay_alu instid0(VALU_DEP_3) | instskip(SKIP_1) | instid1(VALU_DEP_4)
	v_dual_sub_f32 v75, v205, v75 :: v_dual_add_f32 v156, v156, v12
	v_fma_f32 v213, 0x3dbcf732, v88, -v143
	v_dual_add_f32 v45, v200, v44 :: v_dual_mul_f32 v200, 0x3f3d2fb0, v49
	v_sub_f32_e32 v54, v203, v54
	s_delay_alu instid0(VALU_DEP_3)
	v_dual_add_f32 v155, v155, v156 :: v_dual_add_f32 v44, v213, v202
	v_mul_f32_e32 v202, 0xbf1a4643, v56
	v_mul_f32_e32 v213, 0xbf7ba420, v51
	v_fmac_f32_e32 v159, 0xbf7ba420, v46
	v_add_f32_e32 v75, v75, v12
	v_add_f32_e32 v15, v37, v15
	v_dual_add_f32 v197, v197, v202 :: v_dual_mul_f32 v202, 0x3f6eb680, v63
	v_dual_fmac_f32 v128, 0xbe8c1d8e, v81 :: v_dual_add_f32 v61, v61, v171
	v_add_f32_e32 v57, v57, v200
	s_delay_alu instid0(VALU_DEP_3) | instskip(SKIP_1) | instid1(VALU_DEP_4)
	v_dual_add_f32 v153, v197, v153 :: v_dual_add_f32 v198, v198, v202
	v_mul_f32_e32 v156, 0xbf7ba420, v72
	v_dual_mul_f32 v202, 0xbf1a4643, v48 :: v_dual_add_f32 v61, v61, v13
	v_add_f32_e32 v15, v39, v15
	s_delay_alu instid0(VALU_DEP_4) | instskip(NEXT) | instid1(VALU_DEP_4)
	v_add_f32_e32 v153, v198, v153
	v_dual_mul_f32 v197, 0x3dbcf732, v50 :: v_dual_add_f32 v156, v199, v156
	v_mul_f32_e32 v191, 0x3dbcf732, v49
	v_mul_f32_e32 v198, 0xbf1a4643, v55
	;; [unrolled: 1-line block ×3, first 2 shown]
	s_delay_alu instid0(VALU_DEP_4) | instskip(NEXT) | instid1(VALU_DEP_3)
	v_dual_sub_f32 v192, v197, v192 :: v_dual_add_f32 v153, v156, v153
	v_dual_mul_f32 v189, 0x3dbcf732, v48 :: v_dual_sub_f32 v194, v198, v194
	s_delay_alu instid0(VALU_DEP_2) | instskip(SKIP_3) | instid1(VALU_DEP_3)
	v_dual_mul_f32 v198, 0xbf7ba420, v49 :: v_dual_add_f32 v155, v192, v155
	v_mul_f32_e32 v192, 0x3f3d2fb0, v82
	v_mul_f32_e32 v156, 0x3f6eb680, v62
	v_dual_mul_f32 v197, 0xbf1a4643, v49 :: v_dual_add_f32 v112, v112, v206
	v_dual_add_f32 v67, v67, v191 :: v_dual_add_f32 v192, v201, v192
	v_add_f32_e32 v155, v194, v155
	s_delay_alu instid0(VALU_DEP_4) | instskip(SKIP_3) | instid1(VALU_DEP_4)
	v_dual_mul_f32 v201, 0xbf59a7d5, v48 :: v_dual_sub_f32 v156, v156, v195
	v_mul_f32_e32 v194, 0xbe8c1d8e, v93
	v_mul_f32_e32 v195, 0xbf59a7d5, v49
	v_dual_add_f32 v153, v192, v153 :: v_dual_mul_f32 v192, 0xbe8c1d8e, v48
	v_add_f32_e32 v155, v156, v155
	s_delay_alu instid0(VALU_DEP_4) | instskip(SKIP_3) | instid1(VALU_DEP_3)
	v_add_f32_e32 v194, v204, v194
	v_mul_f32_e32 v204, 0xbf7ba420, v71
	v_add_f32_e32 v168, v168, v195
	v_dual_sub_f32 v175, v192, v175 :: v_dual_mul_f32 v192, 0x3f6eb680, v50
	v_dual_mul_f32 v195, 0x3ee437d1, v55 :: v_dual_sub_f32 v190, v204, v190
	v_mul_f32_e32 v204, 0x3f3d2fb0, v81
	v_mul_f32_e32 v156, 0xbe8c1d8e, v49
	s_delay_alu instid0(VALU_DEP_4) | instskip(NEXT) | instid1(VALU_DEP_4)
	v_dual_add_f32 v182, v182, v212 :: v_dual_add_f32 v173, v175, v173
	v_add_f32_e32 v155, v190, v155
	s_delay_alu instid0(VALU_DEP_4) | instskip(NEXT) | instid1(VALU_DEP_4)
	v_dual_sub_f32 v193, v204, v193 :: v_dual_mul_f32 v212, 0x3ee437d1, v50
	v_add_f32_e32 v156, v183, v156
	s_delay_alu instid0(VALU_DEP_4) | instskip(SKIP_1) | instid1(VALU_DEP_4)
	v_add_f32_e32 v182, v182, v13
	v_mul_f32_e32 v190, 0x3f6eb680, v51
	v_add_f32_e32 v155, v193, v155
	v_mul_f32_e32 v193, 0xbf59a7d5, v56
	v_mul_f32_e32 v204, 0xbf1a4643, v50
	;; [unrolled: 1-line block ×3, first 2 shown]
	v_add_f32_e32 v184, v184, v190
	s_delay_alu instid0(VALU_DEP_4) | instskip(SKIP_2) | instid1(VALU_DEP_3)
	v_dual_sub_f32 v178, v192, v178 :: v_dual_add_f32 v185, v185, v193
	v_mul_f32_e32 v193, 0xbe8c1d8e, v50
	v_add_f32_e32 v156, v156, v182
	v_dual_mul_f32 v182, 0xbe8c1d8e, v88 :: v_dual_add_f32 v173, v178, v173
	v_add_f32_e32 v175, v187, v175
	v_mul_f32_e32 v187, 0xbf7ba420, v56
	s_delay_alu instid0(VALU_DEP_4) | instskip(NEXT) | instid1(VALU_DEP_4)
	v_add_f32_e32 v184, v184, v156
	v_sub_f32_e32 v182, v182, v196
	v_mul_f32_e32 v196, 0xbf7ba420, v50
	v_add_f32_e32 v166, v168, v166
	v_mul_f32_e32 v168, 0xbf7ba420, v81
	v_dual_add_f32 v184, v185, v184 :: v_dual_mul_f32 v185, 0x3f3d2fb0, v50
	v_add_f32_e32 v155, v182, v155
	v_mul_f32_e32 v182, 0x3dbcf732, v63
	v_dual_mul_f32 v183, 0x3ee437d1, v51 :: v_dual_add_f32 v156, v194, v153
	v_dual_sub_f32 v168, v168, v177 :: v_dual_mul_f32 v177, 0xbf59a7d5, v63
	s_delay_alu instid0(VALU_DEP_3) | instskip(SKIP_4) | instid1(VALU_DEP_4)
	v_add_f32_e32 v180, v180, v182
	v_mul_f32_e32 v182, 0x3f3d2fb0, v72
	v_mul_f32_e32 v190, 0xbf1a4643, v51
	;; [unrolled: 1-line block ×3, first 2 shown]
	v_sub_f32_e32 v152, v201, v152
	v_dual_add_f32 v180, v180, v184 :: v_dual_add_f32 v181, v181, v182
	v_sub_f32_e32 v151, v185, v151
	s_delay_alu instid0(VALU_DEP_3) | instskip(NEXT) | instid1(VALU_DEP_3)
	v_dual_mul_f32 v185, 0x3f6eb680, v72 :: v_dual_add_f32 v150, v152, v150
	v_dual_mul_f32 v153, 0xbe8c1d8e, v51 :: v_dual_add_f32 v180, v181, v180
	v_mul_f32_e32 v194, 0x3f3d2fb0, v51
	s_delay_alu instid0(VALU_DEP_3) | instskip(SKIP_1) | instid1(VALU_DEP_4)
	v_dual_mul_f32 v181, 0xbf59a7d5, v55 :: v_dual_add_f32 v150, v151, v150
	v_mul_f32_e32 v151, 0x3dbcf732, v71
	v_add_f32_e32 v175, v175, v180
	s_delay_alu instid0(VALU_DEP_4) | instskip(NEXT) | instid1(VALU_DEP_4)
	v_dual_mul_f32 v182, 0x3dbcf732, v56 :: v_dual_add_f32 v167, v167, v194
	v_sub_f32_e32 v179, v181, v179
	v_mul_f32_e32 v194, 0xbe8c1d8e, v63
	v_sub_f32_e32 v146, v195, v146
	v_mul_f32_e32 v195, 0xbf59a7d5, v82
	v_dual_add_f32 v166, v167, v166 :: v_dual_mul_f32 v167, 0x3ee437d1, v88
	v_add_f32_e32 v178, v188, v178
	v_dual_mul_f32 v188, 0x3dbcf732, v62 :: v_dual_add_f32 v173, v179, v173
	s_delay_alu instid0(VALU_DEP_3) | instskip(SKIP_1) | instid1(VALU_DEP_3)
	v_dual_mul_f32 v180, 0xbe8c1d8e, v56 :: v_dual_sub_f32 v167, v167, v186
	v_add_f32_e32 v136, v136, v198
	v_sub_f32_e32 v174, v188, v174
	v_mul_f32_e32 v188, 0x3f3d2fb0, v71
	v_mul_f32_e32 v184, 0x3dbcf732, v55
	v_dual_add_f32 v126, v126, v12 :: v_dual_add_f32 v61, v67, v61
	s_delay_alu instid0(VALU_DEP_4) | instskip(NEXT) | instid1(VALU_DEP_4)
	v_dual_add_f32 v173, v174, v173 :: v_dual_mul_f32 v174, 0x3ee437d1, v56
	v_sub_f32_e32 v176, v188, v176
	v_mul_f32_e32 v192, 0xbf7ba420, v55
	v_dual_add_f32 v135, v136, v135 :: v_dual_add_f32 v136, v137, v153
	v_mul_f32_e32 v137, 0xbf1a4643, v81
	s_delay_alu instid0(VALU_DEP_4) | instskip(SKIP_1) | instid1(VALU_DEP_4)
	v_add_f32_e32 v173, v176, v173
	v_mul_f32_e32 v153, 0xbf7ba420, v88
	v_dual_sub_f32 v80, v202, v80 :: v_dual_add_f32 v135, v136, v135
	v_sub_f32_e32 v122, v199, v122
	s_delay_alu instid0(VALU_DEP_4) | instskip(SKIP_3) | instid1(VALU_DEP_4)
	v_dual_add_f32 v168, v168, v173 :: v_dual_mul_f32 v173, 0xbf7ba420, v63
	v_dual_sub_f32 v64, v189, v64 :: v_dual_mul_f32 v179, 0x3f6eb680, v55
	v_add_f32_e32 v112, v112, v13
	v_add_f32_e32 v113, v113, v197
	;; [unrolled: 1-line block ×4, first 2 shown]
	v_mul_f32_e32 v167, 0xbf7ba420, v62
	v_add_f32_e32 v164, v164, v174
	v_mul_f32_e32 v174, 0x3f3d2fb0, v62
	v_dual_mul_f32 v168, 0x3dbcf732, v72 :: v_dual_sub_f32 v123, v193, v123
	s_delay_alu instid0(VALU_DEP_4) | instskip(NEXT) | instid1(VALU_DEP_4)
	v_sub_f32_e32 v145, v167, v145
	v_dual_mul_f32 v167, 0x3dbcf732, v81 :: v_dual_add_f32 v166, v164, v166
	s_delay_alu instid0(VALU_DEP_3) | instskip(SKIP_1) | instid1(VALU_DEP_3)
	v_dual_add_f32 v165, v165, v168 :: v_dual_add_f32 v164, v178, v175
	v_mul_f32_e32 v178, 0xbe8c1d8e, v71
	v_dual_add_f32 v75, v80, v75 :: v_dual_add_f32 v166, v173, v166
	v_mul_f32_e32 v210, 0x3f6eb680, v56
	v_sub_f32_e32 v80, v196, v85
	v_add_f32_e32 v122, v122, v126
	v_dual_mul_f32 v152, 0xbf1a4643, v93 :: v_dual_mul_f32 v199, 0xbf1a4643, v88
	v_add_f32_e32 v165, v165, v166
	v_add_f32_e32 v136, v139, v210
	v_mul_f32_e32 v210, 0xbf59a7d5, v93
	v_mul_f32_e32 v206, 0x3f3d2fb0, v93
	v_dual_sub_f32 v148, v151, v148 :: v_dual_mul_f32 v151, 0x3f6eb680, v81
	v_mul_f32_e32 v168, 0x3f6eb680, v82
	v_dual_add_f32 v146, v146, v150 :: v_dual_add_f32 v75, v80, v75
	s_delay_alu instid0(VALU_DEP_3) | instskip(NEXT) | instid1(VALU_DEP_3)
	v_dual_add_f32 v112, v113, v112 :: v_dual_sub_f32 v147, v151, v147
	v_add_f32_e32 v168, v170, v168
	v_mul_f32_e32 v188, 0xbe8c1d8e, v62
	v_dual_mul_f32 v170, 0x3f6eb680, v71 :: v_dual_add_f32 v113, v114, v213
	s_delay_alu instid0(VALU_DEP_3)
	v_dual_add_f32 v122, v123, v122 :: v_dual_add_f32 v165, v168, v165
	v_dual_mul_f32 v168, 0xbf59a7d5, v71 :: v_dual_sub_f32 v123, v179, v124
	v_dual_mul_f32 v186, 0x3f3d2fb0, v63 :: v_dual_add_f32 v145, v145, v146
	v_add_f32_e32 v152, v172, v152
	v_add_f32_e32 v112, v113, v112
	;; [unrolled: 1-line block ×4, first 2 shown]
	v_dual_sub_f32 v123, v211, v127 :: v_dual_mul_f32 v198, 0x3ee437d1, v81
	s_delay_alu instid0(VALU_DEP_3) | instskip(SKIP_1) | instid1(VALU_DEP_3)
	v_dual_mul_f32 v151, 0x3f6eb680, v93 :: v_dual_add_f32 v112, v113, v112
	v_add_f32_e32 v113, v116, v186
	v_add_f32_e32 v116, v123, v122
	v_dual_add_f32 v123, v141, v206 :: v_dual_mul_f32 v214, 0x3ee437d1, v63
	v_dual_add_f32 v145, v148, v145 :: v_dual_mul_f32 v148, 0x3f6eb680, v88
	v_dual_mul_f32 v150, 0x3ee437d1, v82 :: v_dual_add_f32 v117, v117, v185
	v_dual_add_f32 v113, v113, v112 :: v_dual_mul_f32 v208, 0x3dbcf732, v82
	v_add_f32_e32 v135, v136, v135
	v_dual_add_f32 v136, v152, v165 :: v_dual_add_f32 v67, v78, v190
	s_delay_alu instid0(VALU_DEP_3) | instskip(SKIP_2) | instid1(VALU_DEP_4)
	v_dual_add_f32 v113, v117, v113 :: v_dual_mul_f32 v146, 0xbf1a4643, v82
	v_mul_f32_e32 v172, 0xbf59a7d5, v72
	v_add_f32_e32 v140, v140, v214
	v_dual_mul_f32 v166, 0xbe8c1d8e, v72 :: v_dual_add_f32 v61, v67, v61
	s_delay_alu instid0(VALU_DEP_3) | instskip(NEXT) | instid1(VALU_DEP_3)
	v_dual_add_f32 v115, v132, v146 :: v_dual_add_f32 v126, v133, v172
	v_add_f32_e32 v135, v140, v135
	v_add_f32_e32 v67, v87, v187
	v_dual_mul_f32 v181, 0xbe8c1d8e, v55 :: v_dual_sub_f32 v122, v168, v129
	v_sub_f32_e32 v52, v154, v52
	s_delay_alu instid0(VALU_DEP_3) | instskip(SKIP_1) | instid1(VALU_DEP_4)
	v_dual_add_f32 v124, v126, v135 :: v_dual_add_f32 v61, v67, v61
	v_add_f32_e32 v67, v97, v177
	v_sub_f32_e32 v78, v181, v95
	s_delay_alu instid0(VALU_DEP_4)
	v_add_f32_e32 v52, v52, v12
	v_add_f32_e32 v37, v60, v183
	;; [unrolled: 1-line block ×7, first 2 shown]
	v_sub_f32_e32 v54, v212, v59
	v_sub_f32_e32 v33, v184, v65
	v_add_f32_e32 v61, v67, v61
	v_add_f32_e32 v67, v105, v150
	s_delay_alu instid0(VALU_DEP_4) | instskip(SKIP_1) | instid1(VALU_DEP_2)
	v_dual_sub_f32 v58, v169, v58 :: v_dual_add_f32 v39, v54, v52
	v_dual_add_f32 v115, v115, v124 :: v_dual_add_f32 v80, v53, v157
	v_dual_add_f32 v61, v67, v61 :: v_dual_add_f32 v58, v58, v12
	v_add_f32_e32 v67, v108, v151
	v_add_f32_e32 v15, v35, v15
	v_dual_add_f32 v32, v33, v39 :: v_dual_fmac_f32 v119, 0xbf1a4643, v62
	s_delay_alu instid0(VALU_DEP_4) | instskip(SKIP_4) | instid1(VALU_DEP_4)
	v_add_f32_e32 v58, v64, v58
	v_sub_f32_e32 v64, v204, v76
	v_sub_f32_e32 v76, v174, v99
	v_add_f32_e32 v114, v147, v145
	v_dual_sub_f32 v33, v188, v77 :: v_dual_add_f32 v112, v123, v115
	v_add_f32_e32 v58, v64, v58
	s_delay_alu instid0(VALU_DEP_4)
	v_dual_add_f32 v75, v76, v75 :: v_dual_sub_f32 v76, v170, v104
	v_add_f32_e32 v53, v67, v61
	v_add_f32_e32 v61, v80, v13
	v_sub_f32_e32 v78, v209, v109
	v_dual_mul_f32 v176, 0xbf59a7d5, v62 :: v_dual_mul_f32 v201, 0xbf59a7d5, v81
	v_dual_add_f32 v75, v76, v75 :: v_dual_sub_f32 v76, v167, v106
	s_delay_alu instid0(VALU_DEP_4) | instskip(SKIP_2) | instid1(VALU_DEP_4)
	v_dual_sub_f32 v126, v199, v142 :: v_dual_add_f32 v57, v57, v61
	v_sub_f32_e32 v64, v192, v83
	v_add_f32_e32 v15, v41, v15
	v_add_f32_e32 v75, v76, v75
	s_delay_alu instid0(VALU_DEP_4) | instskip(SKIP_4) | instid1(VALU_DEP_3)
	v_add_f32_e32 v135, v126, v114
	v_add_f32_e32 v114, v122, v116
	v_sub_f32_e32 v116, v137, v131
	v_dual_add_f32 v36, v37, v57 :: v_dual_fmac_f32 v111, 0xbf59a7d5, v50
	v_add_f32_e32 v37, v66, v182
	v_dual_mul_f32 v173, 0xbf1a4643, v71 :: v_dual_add_f32 v114, v116, v114
	v_sub_f32_e32 v116, v207, v130
	s_delay_alu instid0(VALU_DEP_3)
	v_dual_add_f32 v15, v43, v15 :: v_dual_add_f32 v36, v37, v36
	v_add_f32_e32 v37, v79, v194
	v_add_f32_e32 v58, v64, v58
	v_sub_f32_e32 v64, v176, v92
	v_add_f32_e32 v115, v120, v208
	v_dual_add_f32 v32, v33, v32 :: v_dual_fmac_f32 v125, 0x3ee437d1, v71
	s_delay_alu instid0(VALU_DEP_3)
	v_dual_add_f32 v35, v37, v36 :: v_dual_add_f32 v58, v64, v58
	v_dual_sub_f32 v33, v173, v84 :: v_dual_sub_f32 v64, v178, v98
	v_add_f32_e32 v15, v29, v15
	v_add_f32_e32 v113, v115, v113
	;; [unrolled: 1-line block ×3, first 2 shown]
	v_sub_f32_e32 v29, v201, v94
	v_add_f32_e32 v58, v64, v58
	v_sub_f32_e32 v64, v198, v103
	v_add_f32_e32 v31, v31, v15
	v_dual_add_f32 v76, v115, v113 :: v_dual_mul_f32 v175, 0xbf1a4643, v72
	v_add_f32_e32 v12, v159, v12
	s_delay_alu instid0(VALU_DEP_3) | instskip(SKIP_1) | instid1(VALU_DEP_3)
	v_dual_add_f32 v58, v64, v58 :: v_dual_add_f32 v25, v25, v31
	v_fma_f32 v31, 0xbf7ba420, v47, -v158
	v_dual_mul_f32 v139, 0xbf7ba420, v93 :: v_dual_add_f32 v12, v110, v12
	v_fmac_f32_e32 v143, 0x3dbcf732, v88
	s_delay_alu instid0(VALU_DEP_4) | instskip(NEXT) | instid1(VALU_DEP_4)
	v_add_f32_e32 v25, v27, v25
	v_add_f32_e32 v13, v31, v13
	v_fma_f32 v27, 0x3f6eb680, v49, -v160
	s_delay_alu instid0(VALU_DEP_3) | instskip(SKIP_1) | instid1(VALU_DEP_2)
	v_dual_add_f32 v12, v111, v12 :: v_dual_add_f32 v21, v21, v25
	v_fma_f32 v25, 0xbf59a7d5, v51, -v161
	v_dual_add_f32 v13, v27, v13 :: v_dual_add_f32 v12, v118, v12
	s_delay_alu instid0(VALU_DEP_3) | instskip(SKIP_1) | instid1(VALU_DEP_3)
	v_add_f32_e32 v21, v23, v21
	v_fma_f32 v23, 0x3f3d2fb0, v56, -v162
	v_dual_add_f32 v13, v25, v13 :: v_dual_add_f32 v12, v119, v12
	s_delay_alu instid0(VALU_DEP_3) | instskip(NEXT) | instid1(VALU_DEP_2)
	v_dual_add_f32 v17, v17, v21 :: v_dual_add_f32 v14, v34, v14
	v_add_f32_e32 v13, v23, v13
	v_fma_f32 v21, 0xbf1a4643, v63, -v138
	s_delay_alu instid0(VALU_DEP_3) | instskip(NEXT) | instid1(VALU_DEP_4)
	v_dual_add_f32 v34, v86, v175 :: v_dual_add_f32 v17, v19, v17
	v_add_f32_e32 v14, v40, v14
	v_fma_f32 v19, 0x3ee437d1, v72, -v134
	s_delay_alu instid0(VALU_DEP_3) | instskip(NEXT) | instid1(VALU_DEP_4)
	v_dual_add_f32 v13, v21, v13 :: v_dual_add_f32 v34, v34, v35
	v_add_f32_e32 v9, v9, v17
	v_fma_f32 v17, 0xbe8c1d8e, v82, -v144
	v_add_f32_e32 v35, v96, v195
	s_delay_alu instid0(VALU_DEP_4) | instskip(SKIP_2) | instid1(VALU_DEP_3)
	v_dual_add_f32 v13, v19, v13 :: v_dual_add_f32 v14, v42, v14
	v_dual_add_f32 v75, v78, v75 :: v_dual_add_f32 v32, v33, v32
	v_add_f32_e32 v111, v116, v114
	v_add_f32_e32 v13, v17, v13
	v_fma_f32 v17, 0x3dbcf732, v93, -v149
	v_add_f32_e32 v14, v28, v14
	v_dual_add_f32 v12, v125, v12 :: v_dual_add_f32 v33, v35, v34
	s_delay_alu instid0(VALU_DEP_3) | instskip(NEXT) | instid1(VALU_DEP_3)
	v_dual_add_f32 v34, v102, v139 :: v_dual_add_f32 v13, v17, v13
	v_add_f32_e32 v30, v30, v14
	v_add_f32_e32 v28, v29, v32
	v_dual_sub_f32 v29, v153, v101 :: v_dual_sub_f32 v64, v148, v107
	s_delay_alu instid0(VALU_DEP_3) | instskip(SKIP_1) | instid1(VALU_DEP_3)
	v_dual_add_f32 v15, v34, v33 :: v_dual_add_f32 v24, v24, v30
	v_add_f32_e32 v12, v128, v12
	v_add_f32_e32 v14, v29, v28
	s_delay_alu instid0(VALU_DEP_4) | instskip(NEXT) | instid1(VALU_DEP_4)
	v_add_f32_e32 v52, v64, v58
	v_add_f32_e32 v24, v26, v24
	s_delay_alu instid0(VALU_DEP_4) | instskip(NEXT) | instid1(VALU_DEP_2)
	v_add_f32_e32 v12, v143, v12
	v_add_f32_e32 v20, v20, v24
	s_delay_alu instid0(VALU_DEP_1) | instskip(NEXT) | instid1(VALU_DEP_1)
	v_add_f32_e32 v20, v22, v20
	v_add_f32_e32 v16, v16, v20
	s_delay_alu instid0(VALU_DEP_1) | instskip(NEXT) | instid1(VALU_DEP_1)
	v_add_f32_e32 v16, v18, v16
	v_add_f32_e32 v8, v8, v16
	v_and_b32_e32 v16, 0xffff, v91
	s_delay_alu instid0(VALU_DEP_1)
	v_lshlrev_b32_e32 v16, 3, v16
	ds_store_2addr_b64 v16, v[8:9], v[14:15] offset1:1
	ds_store_2addr_b64 v16, v[52:53], v[75:76] offset0:2 offset1:3
	ds_store_2addr_b64 v16, v[111:112], v[135:136] offset0:4 offset1:5
	;; [unrolled: 1-line block ×7, first 2 shown]
	ds_store_b64 v16, v[69:70] offset:128
.LBB0_7:
	s_wait_alu 0xfffe
	s_or_b32 exec_lo, exec_lo, s0
	v_and_b32_e32 v8, 0xff, v90
	s_load_b128 s[4:7], s[2:3], 0x0
	global_wb scope:SCOPE_SE
	s_wait_dscnt 0x0
	s_wait_kmcnt 0x0
	s_barrier_signal -1
	s_barrier_wait -1
	v_mul_lo_u16 v8, 0xf1, v8
	global_inv scope:SCOPE_SE
	v_cmp_gt_u16_e64 s0, 0xaa, v90
	v_lshrrev_b16 v36, 12, v8
	s_delay_alu instid0(VALU_DEP_1) | instskip(NEXT) | instid1(VALU_DEP_1)
	v_mul_lo_u16 v8, v36, 17
	v_sub_nc_u16 v8, v90, v8
	s_delay_alu instid0(VALU_DEP_1) | instskip(NEXT) | instid1(VALU_DEP_1)
	v_and_b32_e32 v48, 0xff, v8
	v_mad_co_u64_u32 v[8:9], null, 0x48, v48, s[10:11]
	s_clause 0x4
	global_load_b128 v[24:27], v[8:9], off
	global_load_b128 v[20:23], v[8:9], off offset:16
	global_load_b128 v[16:19], v[8:9], off offset:32
	;; [unrolled: 1-line block ×3, first 2 shown]
	global_load_b64 v[71:72], v[8:9], off offset:64
	v_add_nc_u32_e32 v9, 0x1600, v89
	v_and_b32_e32 v44, 0xffff, v36
	ds_load_2addr_b64 v[28:31], v89 offset1:187
	ds_load_2addr_b64 v[36:39], v9 offset0:44 offset1:231
	v_add_nc_u32_e32 v8, 0xa00, v89
	s_wait_loadcnt_dscnt 0x300
	v_dual_mul_f32 v52, v37, v23 :: v_dual_add_nc_u32 v9, 0x2e00, v89
	v_mul_f32_e32 v53, v36, v23
	ds_load_2addr_b64 v[32:35], v8 offset0:54 offset1:241
	v_dual_fmac_f32 v53, v37, v22 :: v_dual_add_nc_u32 v8, 0x2200, v89
	ds_load_2addr_b64 v[40:43], v8 offset0:34 offset1:221
	s_wait_loadcnt 0x2
	v_mul_f32_e32 v55, v38, v17
	s_wait_dscnt 0x1
	v_mul_f32_e32 v51, v34, v21
	v_mul_u32_u24_e32 v8, 0xaa, v44
	ds_load_2addr_b64 v[44:47], v9 offset0:24 offset1:211
	v_mul_f32_e32 v9, v30, v25
	v_dual_mul_f32 v49, v32, v27 :: v_dual_mul_f32 v50, v35, v21
	v_add_lshl_u32 v92, v8, v48, 3
	v_mul_f32_e32 v8, v31, v25
	v_mul_f32_e32 v48, v33, v27
	s_delay_alu instid0(VALU_DEP_4)
	v_dual_mul_f32 v54, v39, v17 :: v_dual_fmac_f32 v49, v33, v26
	s_wait_dscnt 0x1
	v_mul_f32_e32 v56, v41, v19
	s_wait_loadcnt 0x1
	v_dual_mul_f32 v57, v40, v19 :: v_dual_mul_f32 v58, v43, v13
	v_mul_f32_e32 v59, v42, v13
	v_fma_f32 v33, v38, v16, -v54
	global_wb scope:SCOPE_SE
	s_wait_loadcnt_dscnt 0x0
	s_barrier_signal -1
	v_fmac_f32_e32 v57, v41, v18
	v_fmac_f32_e32 v55, v39, v16
	s_barrier_wait -1
	global_inv scope:SCOPE_SE
	v_mul_f32_e32 v60, v45, v15
	v_dual_mul_f32 v61, v44, v15 :: v_dual_mul_f32 v62, v47, v72
	v_mul_f32_e32 v63, v46, v72
	v_fma_f32 v8, v30, v24, -v8
	v_fma_f32 v30, v32, v26, -v48
	v_fmac_f32_e32 v9, v31, v24
	v_fma_f32 v31, v34, v20, -v50
	v_fma_f32 v32, v36, v22, -v52
	;; [unrolled: 1-line block ×3, first 2 shown]
	v_add_f32_e32 v38, v28, v30
	v_fma_f32 v36, v44, v14, -v60
	v_fmac_f32_e32 v61, v45, v14
	v_fmac_f32_e32 v51, v35, v20
	v_fma_f32 v35, v42, v12, -v58
	v_dual_fmac_f32 v59, v43, v12 :: v_dual_sub_f32 v50, v32, v34
	v_fma_f32 v37, v46, v71, -v62
	v_dual_fmac_f32 v63, v47, v71 :: v_dual_add_f32 v44, v30, v36
	v_dual_add_f32 v39, v32, v34 :: v_dual_sub_f32 v46, v34, v36
	v_dual_sub_f32 v42, v30, v32 :: v_dual_sub_f32 v43, v36, v34
	v_sub_f32_e32 v52, v49, v53
	v_dual_add_f32 v47, v29, v49 :: v_dual_add_f32 v60, v8, v31
	v_add_f32_e32 v48, v53, v57
	v_dual_add_f32 v62, v33, v35 :: v_dual_add_f32 v75, v31, v37
	v_sub_f32_e32 v40, v49, v61
	v_sub_f32_e32 v41, v53, v57
	v_dual_sub_f32 v45, v32, v30 :: v_dual_sub_f32 v54, v61, v57
	v_sub_f32_e32 v30, v30, v36
	v_dual_add_f32 v56, v49, v61 :: v_dual_sub_f32 v65, v55, v59
	v_dual_sub_f32 v49, v53, v49 :: v_dual_sub_f32 v64, v51, v63
	v_dual_sub_f32 v58, v57, v61 :: v_dual_add_f32 v79, v55, v59
	v_dual_sub_f32 v66, v31, v33 :: v_dual_sub_f32 v67, v37, v35
	v_dual_sub_f32 v76, v33, v31 :: v_dual_sub_f32 v77, v35, v37
	v_dual_add_f32 v78, v9, v51 :: v_dual_sub_f32 v31, v31, v37
	v_sub_f32_e32 v80, v33, v35
	v_dual_sub_f32 v81, v51, v55 :: v_dual_add_f32 v32, v38, v32
	v_sub_f32_e32 v82, v63, v59
	v_dual_sub_f32 v84, v59, v63 :: v_dual_add_f32 v33, v60, v33
	v_fma_f32 v38, -0.5, v39, v28
	v_add_f32_e32 v39, v42, v43
	v_fma_f32 v28, -0.5, v44, v28
	v_add_f32_e32 v43, v47, v53
	v_fma_f32 v44, -0.5, v48, v29
	v_fma_f32 v47, -0.5, v62, v8
	v_dual_add_f32 v83, v51, v63 :: v_dual_add_f32 v42, v45, v46
	v_dual_sub_f32 v51, v55, v51 :: v_dual_add_f32 v46, v49, v58
	v_add_f32_e32 v45, v52, v54
	v_fma_f32 v29, -0.5, v56, v29
	s_delay_alu instid0(VALU_DEP_3) | instskip(SKIP_4) | instid1(VALU_DEP_4)
	v_dual_fmac_f32 v8, -0.5, v75 :: v_dual_add_f32 v51, v51, v84
	v_dual_add_f32 v52, v78, v55 :: v_dual_add_f32 v43, v43, v57
	v_fma_f32 v53, -0.5, v79, v9
	v_fmamk_f32 v56, v41, 0xbf737871, v28
	v_dual_fmac_f32 v28, 0x3f737871, v41 :: v_dual_add_f32 v33, v33, v35
	v_dual_fmamk_f32 v57, v30, 0xbf737871, v44 :: v_dual_add_f32 v52, v52, v59
	v_dual_fmac_f32 v44, 0x3f737871, v30 :: v_dual_fmamk_f32 v35, v64, 0x3f737871, v47
	v_dual_add_f32 v48, v66, v67 :: v_dual_add_f32 v49, v76, v77
	v_dual_fmac_f32 v9, -0.5, v83 :: v_dual_add_f32 v32, v32, v34
	v_dual_fmamk_f32 v34, v40, 0x3f737871, v38 :: v_dual_fmamk_f32 v67, v50, 0x3f737871, v29
	v_dual_fmac_f32 v38, 0xbf737871, v40 :: v_dual_fmac_f32 v29, 0xbf737871, v50
	v_dual_fmac_f32 v47, 0xbf737871, v64 :: v_dual_fmamk_f32 v58, v65, 0xbf737871, v8
	v_fmamk_f32 v59, v31, 0xbf737871, v53
	v_dual_fmac_f32 v8, 0x3f737871, v65 :: v_dual_fmac_f32 v53, 0x3f737871, v31
	v_dual_fmac_f32 v56, 0x3f167918, v40 :: v_dual_fmac_f32 v35, 0x3f167918, v65
	v_add_f32_e32 v54, v81, v82
	v_dual_add_f32 v32, v32, v36 :: v_dual_fmac_f32 v57, 0xbf167918, v50
	v_dual_fmac_f32 v34, 0x3f167918, v41 :: v_dual_fmac_f32 v29, 0x3f167918, v30
	v_dual_fmac_f32 v38, 0xbf167918, v41 :: v_dual_fmac_f32 v67, 0xbf167918, v30
	v_add_f32_e32 v36, v43, v61
	v_dual_fmac_f32 v44, 0x3f167918, v50 :: v_dual_fmac_f32 v53, 0x3f167918, v80
	v_dual_add_f32 v30, v33, v37 :: v_dual_fmac_f32 v59, 0xbf167918, v80
	v_dual_fmac_f32 v58, 0x3f167918, v64 :: v_dual_add_f32 v33, v52, v63
	v_fmac_f32_e32 v8, 0xbf167918, v64
	v_dual_fmac_f32 v56, 0x3e9e377a, v42 :: v_dual_fmac_f32 v35, 0x3e9e377a, v48
	v_dual_fmac_f32 v44, 0x3e9e377a, v45 :: v_dual_fmac_f32 v29, 0x3e9e377a, v46
	s_delay_alu instid0(VALU_DEP_4) | instskip(NEXT) | instid1(VALU_DEP_4)
	v_dual_fmac_f32 v58, 0x3e9e377a, v49 :: v_dual_fmac_f32 v59, 0x3e9e377a, v54
	v_dual_fmac_f32 v8, 0x3e9e377a, v49 :: v_dual_fmac_f32 v53, 0x3e9e377a, v54
	v_add_f32_e32 v49, v36, v33
	v_dual_sub_f32 v55, v36, v33 :: v_dual_mul_f32 v36, 0xbf167918, v35
	v_dual_fmac_f32 v28, 0xbf167918, v40 :: v_dual_fmac_f32 v47, 0xbf167918, v65
	v_dual_fmac_f32 v34, 0x3e9e377a, v39 :: v_dual_fmac_f32 v57, 0x3e9e377a, v45
	v_dual_fmac_f32 v38, 0x3e9e377a, v39 :: v_dual_fmac_f32 v67, 0x3e9e377a, v46
	s_delay_alu instid0(VALU_DEP_4) | instskip(SKIP_4) | instid1(VALU_DEP_4)
	v_fmac_f32_e32 v36, 0x3f4f1bbd, v59
	v_fmamk_f32 v60, v80, 0x3f737871, v9
	v_fmac_f32_e32 v9, 0xbf737871, v80
	v_dual_fmac_f32 v28, 0x3e9e377a, v42 :: v_dual_fmac_f32 v47, 0x3e9e377a, v48
	v_add_f32_e32 v48, v32, v30
	v_fmac_f32_e32 v60, 0xbf167918, v31
	s_delay_alu instid0(VALU_DEP_4) | instskip(SKIP_2) | instid1(VALU_DEP_3)
	v_dual_fmac_f32 v9, 0x3f167918, v31 :: v_dual_sub_f32 v54, v32, v30
	v_mul_f32_e32 v30, 0x3f167918, v59
	v_dual_mul_f32 v33, 0x3f4f1bbd, v47 :: v_dual_mul_f32 v40, 0x3f4f1bbd, v53
	v_fmac_f32_e32 v9, 0x3e9e377a, v51
	v_fmac_f32_e32 v60, 0x3e9e377a, v51
	s_delay_alu instid0(VALU_DEP_4) | instskip(NEXT) | instid1(VALU_DEP_3)
	v_fmac_f32_e32 v30, 0x3f4f1bbd, v35
	v_mul_f32_e32 v39, 0x3e9e377a, v9
	s_delay_alu instid0(VALU_DEP_2) | instskip(SKIP_1) | instid1(VALU_DEP_3)
	v_dual_mul_f32 v31, 0x3f737871, v60 :: v_dual_add_f32 v50, v34, v30
	v_mul_f32_e32 v32, 0x3e9e377a, v8
	v_fma_f32 v8, 0xbf737871, v8, -v39
	s_delay_alu instid0(VALU_DEP_3) | instskip(SKIP_1) | instid1(VALU_DEP_4)
	v_fmac_f32_e32 v31, 0x3e9e377a, v58
	v_mul_f32_e32 v37, 0xbf737871, v58
	v_fma_f32 v9, 0x3f737871, v9, -v32
	v_fma_f32 v32, 0x3f167918, v53, -v33
	;; [unrolled: 1-line block ×3, first 2 shown]
	v_add_f32_e32 v63, v29, v8
	s_delay_alu instid0(VALU_DEP_4) | instskip(SKIP_1) | instid1(VALU_DEP_4)
	v_dual_fmac_f32 v37, 0x3e9e377a, v60 :: v_dual_add_f32 v62, v28, v9
	v_add_f32_e32 v60, v56, v31
	v_dual_add_f32 v52, v38, v32 :: v_dual_sub_f32 v59, v44, v33
	s_delay_alu instid0(VALU_DEP_3)
	v_add_f32_e32 v61, v67, v37
	v_add_f32_e32 v53, v44, v33
	v_sub_f32_e32 v66, v56, v31
	v_sub_f32_e32 v56, v28, v9
	v_dual_sub_f32 v58, v38, v32 :: v_dual_sub_f32 v67, v67, v37
	v_dual_add_f32 v51, v57, v36 :: v_dual_sub_f32 v64, v34, v30
	v_sub_f32_e32 v65, v57, v36
	v_sub_f32_e32 v57, v29, v8
	ds_store_2addr_b64 v92, v[48:49], v[50:51] offset1:17
	ds_store_2addr_b64 v92, v[60:61], v[62:63] offset0:34 offset1:51
	ds_store_2addr_b64 v92, v[52:53], v[54:55] offset0:68 offset1:85
	;; [unrolled: 1-line block ×4, first 2 shown]
	global_wb scope:SCOPE_SE
	s_wait_dscnt 0x0
	s_barrier_signal -1
	s_barrier_wait -1
	global_inv scope:SCOPE_SE
	s_and_saveexec_b32 s1, s0
	s_cbranch_execz .LBB0_9
; %bb.8:
	v_add_nc_u32_e32 v8, 0x800, v89
	v_add_nc_u32_e32 v9, 0x1400, v89
	;; [unrolled: 1-line block ×4, first 2 shown]
	ds_load_2addr_b64 v[48:51], v89 offset1:170
	ds_load_2addr_b64 v[60:63], v8 offset0:84 offset1:254
	ds_load_2addr_b64 v[52:55], v9 offset0:40 offset1:210
	;; [unrolled: 1-line block ×4, first 2 shown]
	ds_load_b64 v[73:74], v89 offset:13600
.LBB0_9:
	s_wait_alu 0xfffe
	s_or_b32 exec_lo, exec_lo, s1
	v_add_nc_u32_e32 v8, 0xffffff56, v90
	s_delay_alu instid0(VALU_DEP_1) | instskip(NEXT) | instid1(VALU_DEP_1)
	v_cndmask_b32_e64 v8, v8, v90, s0
	v_mul_i32_i24_e32 v9, 0x50, v8
	v_mul_hi_i32_i24_e32 v28, 0x50, v8
	s_delay_alu instid0(VALU_DEP_2) | instskip(SKIP_1) | instid1(VALU_DEP_2)
	v_add_co_u32 v8, s1, s10, v9
	s_wait_alu 0xf1ff
	v_add_co_ci_u32_e64 v9, s1, s11, v28, s1
	s_clause 0x4
	global_load_b128 v[40:43], v[8:9], off offset:1224
	global_load_b128 v[32:35], v[8:9], off offset:1240
	;; [unrolled: 1-line block ×5, first 2 shown]
	s_wait_loadcnt_dscnt 0x405
	v_mul_f32_e32 v79, v51, v41
	s_wait_dscnt 0x4
	v_dual_mul_f32 v80, v50, v41 :: v_dual_mul_f32 v81, v61, v43
	s_wait_loadcnt_dscnt 0x203
	v_dual_mul_f32 v86, v52, v35 :: v_dual_mul_f32 v87, v55, v29
	s_wait_loadcnt_dscnt 0x1
	v_dual_mul_f32 v8, v56, v39 :: v_dual_mul_f32 v95, v59, v45
	v_dual_mul_f32 v82, v60, v43 :: v_dual_mul_f32 v83, v63, v33
	;; [unrolled: 1-line block ×5, first 2 shown]
	s_wait_dscnt 0x0
	v_dual_mul_f32 v75, v58, v45 :: v_dual_mul_f32 v76, v73, v47
	s_delay_alu instid0(VALU_DEP_3) | instskip(SKIP_1) | instid1(VALU_DEP_3)
	v_dual_mul_f32 v96, v74, v47 :: v_dual_fmac_f32 v77, v65, v30
	v_fma_f32 v60, v60, v42, -v81
	v_dual_fmac_f32 v86, v53, v34 :: v_dual_fmac_f32 v75, v59, v44
	v_fma_f32 v53, v54, v28, -v87
	v_fma_f32 v54, v58, v44, -v95
	v_dual_mul_f32 v88, v65, v31 :: v_dual_mul_f32 v93, v67, v37
	v_fma_f32 v79, v50, v40, -v79
	v_fmac_f32_e32 v80, v51, v40
	v_dual_fmac_f32 v82, v61, v42 :: v_dual_fmac_f32 v9, v67, v36
	v_fma_f32 v65, v73, v46, -v96
	v_sub_f32_e32 v67, v60, v54
	v_fmac_f32_e32 v76, v74, v46
	v_fma_f32 v61, v62, v32, -v83
	v_dual_fmac_f32 v84, v63, v32 :: v_dual_sub_f32 v73, v82, v75
	v_fma_f32 v52, v52, v34, -v85
	v_fma_f32 v51, v66, v36, -v93
	v_fmac_f32_e32 v78, v55, v28
	v_fma_f32 v55, v64, v30, -v88
	v_fma_f32 v50, v56, v38, -v94
	v_fmac_f32_e32 v8, v57, v38
	v_dual_add_f32 v56, v48, v79 :: v_dual_add_f32 v85, v86, v9
	v_dual_add_f32 v57, v49, v80 :: v_dual_add_f32 v58, v79, v65
	v_sub_f32_e32 v63, v80, v76
	v_dual_add_f32 v59, v80, v76 :: v_dual_sub_f32 v62, v79, v65
	v_add_f32_e32 v79, v84, v8
	v_dual_add_f32 v64, v60, v54 :: v_dual_add_f32 v93, v53, v55
	v_dual_add_f32 v66, v82, v75 :: v_dual_sub_f32 v81, v84, v8
	v_dual_add_f32 v74, v61, v50 :: v_dual_sub_f32 v87, v52, v51
	v_dual_sub_f32 v80, v61, v50 :: v_dual_mul_f32 v97, 0xbf68dda4, v63
	v_dual_add_f32 v83, v52, v51 :: v_dual_sub_f32 v88, v86, v9
	v_dual_sub_f32 v95, v53, v55 :: v_dual_add_f32 v94, v78, v77
	v_dual_add_f32 v57, v57, v82 :: v_dual_sub_f32 v96, v78, v77
	v_dual_mul_f32 v99, 0xbf7d64f0, v63 :: v_dual_add_f32 v56, v56, v60
	v_mul_f32_e32 v101, 0xbf4178ce, v63
	v_dual_mul_f32 v60, 0xbf0a6770, v63 :: v_dual_mul_f32 v117, 0xbf0a6770, v81
	v_dual_mul_f32 v82, 0xbf0a6770, v62 :: v_dual_mul_f32 v123, 0xbf0a6770, v88
	;; [unrolled: 1-line block ×9, first 2 shown]
	v_dual_mul_f32 v104, 0xbf68dda4, v67 :: v_dual_add_f32 v57, v57, v84
	v_mul_f32_e32 v106, 0xbf4178ce, v67
	v_dual_mul_f32 v67, 0x3f0a6770, v67 :: v_dual_add_f32 v56, v56, v61
	v_mul_f32_e32 v112, 0xbf7d64f0, v80
	v_dual_mul_f32 v113, 0x3e903f40, v81 :: v_dual_mul_f32 v114, 0x3e903f40, v80
	v_dual_mul_f32 v115, 0x3f68dda4, v81 :: v_dual_mul_f32 v116, 0x3f68dda4, v80
	v_mul_f32_e32 v81, 0xbf4178ce, v81
	v_dual_mul_f32 v119, 0xbf4178ce, v88 :: v_dual_mul_f32 v120, 0xbf4178ce, v87
	v_dual_mul_f32 v121, 0x3f7d64f0, v88 :: v_dual_mul_f32 v122, 0x3f7d64f0, v87
	;; [unrolled: 1-line block ×3, first 2 shown]
	v_mul_f32_e32 v88, 0x3f68dda4, v88
	v_dual_mul_f32 v127, 0xbe903f40, v96 :: v_dual_mul_f32 v128, 0xbe903f40, v95
	v_mul_f32_e32 v129, 0x3f0a6770, v96
	v_dual_mul_f32 v131, 0xbf4178ce, v96 :: v_dual_mul_f32 v132, 0xbf4178ce, v95
	v_dual_mul_f32 v133, 0x3f68dda4, v96 :: v_dual_mul_f32 v134, 0x3f68dda4, v95
	v_mul_f32_e32 v95, 0xbf7d64f0, v95
	v_fma_f32 v61, 0x3f575c64, v58, -v60
	v_mul_f32_e32 v118, 0xbf0a6770, v80
	v_fmamk_f32 v84, v59, 0x3f575c64, v82
	v_fmac_f32_e32 v60, 0x3f575c64, v58
	v_fma_f32 v82, 0x3f575c64, v59, -v82
	v_fma_f32 v135, 0x3ed4b147, v58, -v97
	v_dual_fmamk_f32 v136, v59, 0x3ed4b147, v98 :: v_dual_fmac_f32 v97, 0x3ed4b147, v58
	v_fma_f32 v98, 0x3ed4b147, v59, -v98
	v_mul_f32_e32 v80, 0xbf4178ce, v80
	v_fma_f32 v137, 0xbe11bafb, v58, -v99
	v_mul_f32_e32 v96, 0xbf7d64f0, v96
	v_dual_fmamk_f32 v138, v59, 0xbe11bafb, v100 :: v_dual_fmac_f32 v99, 0xbe11bafb, v58
	v_fma_f32 v100, 0xbe11bafb, v59, -v100
	v_fma_f32 v139, 0xbf27a4f4, v58, -v101
	v_dual_fmamk_f32 v140, v59, 0xbf27a4f4, v102 :: v_dual_fmac_f32 v101, 0xbf27a4f4, v58
	v_fma_f32 v102, 0xbf27a4f4, v59, -v102
	v_fma_f32 v141, 0xbf75a155, v58, -v63
	;; [unrolled: 3-line block ×3, first 2 shown]
	v_fmac_f32_e32 v73, 0x3f575c64, v64
	v_mul_f32_e32 v124, 0xbf0a6770, v87
	v_mul_f32_e32 v87, 0x3f68dda4, v87
	v_fma_f32 v59, 0x3ed4b147, v64, -v103
	v_dual_fmamk_f32 v62, v66, 0x3ed4b147, v104 :: v_dual_fmac_f32 v103, 0x3ed4b147, v64
	v_fma_f32 v104, 0x3ed4b147, v66, -v104
	v_fma_f32 v143, 0xbf27a4f4, v64, -v105
	v_dual_fmamk_f32 v144, v66, 0xbf27a4f4, v106 :: v_dual_fmac_f32 v105, 0xbf27a4f4, v64
	v_fma_f32 v106, 0xbf27a4f4, v66, -v106
	;; [unrolled: 3-line block ×4, first 2 shown]
	v_dual_fmamk_f32 v150, v66, 0x3f575c64, v67 :: v_dual_add_f32 v99, v48, v99
	v_fma_f32 v64, 0x3f575c64, v66, -v67
	v_fma_f32 v66, 0xbe11bafb, v74, -v111
	v_dual_fmamk_f32 v67, v79, 0xbe11bafb, v112 :: v_dual_fmamk_f32 v174, v94, 0xbe11bafb, v95
	v_dual_fmac_f32 v111, 0xbe11bafb, v74 :: v_dual_fmamk_f32 v160, v85, 0xbe11bafb, v122
	v_fma_f32 v112, 0xbe11bafb, v79, -v112
	v_fma_f32 v151, 0xbf75a155, v74, -v113
	v_dual_fmamk_f32 v152, v79, 0xbf75a155, v114 :: v_dual_fmac_f32 v113, 0xbf75a155, v74
	v_fma_f32 v114, 0xbf75a155, v79, -v114
	v_fma_f32 v153, 0x3ed4b147, v74, -v115
	v_dual_fmamk_f32 v154, v79, 0x3ed4b147, v116 :: v_dual_fmac_f32 v115, 0x3ed4b147, v74
	v_fma_f32 v116, 0x3ed4b147, v79, -v116
	v_fma_f32 v155, 0x3f575c64, v74, -v117
	v_fmac_f32_e32 v117, 0x3f575c64, v74
	v_fma_f32 v157, 0xbf27a4f4, v74, -v81
	v_dual_fmamk_f32 v158, v79, 0xbf27a4f4, v80 :: v_dual_fmac_f32 v81, 0xbf27a4f4, v74
	v_fma_f32 v74, 0xbf27a4f4, v79, -v80
	v_fmamk_f32 v80, v85, 0xbf27a4f4, v120
	v_fma_f32 v120, 0xbf27a4f4, v85, -v120
	v_fma_f32 v159, 0xbe11bafb, v83, -v121
	v_fmac_f32_e32 v121, 0xbe11bafb, v83
	v_fma_f32 v122, 0xbe11bafb, v85, -v122
	v_fma_f32 v161, 0x3f575c64, v83, -v123
	v_fmac_f32_e32 v123, 0x3f575c64, v83
	v_fma_f32 v163, 0xbf75a155, v83, -v125
	v_dual_fmamk_f32 v164, v85, 0xbf75a155, v126 :: v_dual_fmac_f32 v125, 0xbf75a155, v83
	v_fma_f32 v126, 0xbf75a155, v85, -v126
	v_fma_f32 v165, 0x3ed4b147, v83, -v88
	v_fmamk_f32 v166, v85, 0x3ed4b147, v87
	v_fmac_f32_e32 v88, 0x3ed4b147, v83
	v_fma_f32 v169, 0xbf27a4f4, v93, -v131
	v_dual_fmamk_f32 v170, v94, 0xbf27a4f4, v132 :: v_dual_fmac_f32 v131, 0xbf27a4f4, v93
	v_fma_f32 v171, 0x3ed4b147, v93, -v133
	v_fmac_f32_e32 v133, 0x3ed4b147, v93
	v_fma_f32 v173, 0xbe11bafb, v93, -v96
	v_fmac_f32_e32 v96, 0xbe11bafb, v93
	v_add_f32_e32 v52, v56, v52
	v_add_f32_e32 v56, v57, v86
	v_fma_f32 v167, 0x3f575c64, v93, -v129
	v_fmac_f32_e32 v129, 0x3f575c64, v93
	v_dual_add_f32 v57, v48, v61 :: v_dual_fmamk_f32 v156, v79, 0x3f575c64, v118
	v_fma_f32 v118, 0x3f575c64, v79, -v118
	v_fma_f32 v79, 0xbf27a4f4, v83, -v119
	v_fmac_f32_e32 v119, 0xbf27a4f4, v83
	v_fma_f32 v83, 0x3ed4b147, v85, -v87
	v_dual_fmamk_f32 v87, v94, 0xbf75a155, v128 :: v_dual_add_f32 v60, v48, v60
	v_add_f32_e32 v61, v49, v84
	v_fmamk_f32 v162, v85, 0x3f575c64, v124
	v_fma_f32 v124, 0x3f575c64, v85, -v124
	v_fma_f32 v85, 0xbf75a155, v93, -v127
	v_dual_fmac_f32 v127, 0xbf75a155, v93 :: v_dual_add_f32 v82, v49, v82
	v_fma_f32 v93, 0xbe11bafb, v94, -v95
	v_add_f32_e32 v86, v49, v136
	v_add_f32_e32 v95, v49, v98
	;; [unrolled: 1-line block ×8, first 2 shown]
	v_fma_f32 v128, 0xbf75a155, v94, -v128
	v_dual_fmamk_f32 v168, v94, 0x3f575c64, v130 :: v_dual_add_f32 v101, v48, v101
	v_fma_f32 v130, 0x3f575c64, v94, -v130
	v_fma_f32 v132, 0xbf27a4f4, v94, -v132
	v_fmamk_f32 v172, v94, 0x3ed4b147, v134
	v_fma_f32 v134, 0x3ed4b147, v94, -v134
	v_add_f32_e32 v84, v48, v135
	v_add_f32_e32 v94, v48, v97
	;; [unrolled: 1-line block ×4, first 2 shown]
	v_dual_add_f32 v137, v48, v141 :: v_dual_add_f32 v58, v103, v60
	v_add_f32_e32 v52, v52, v53
	v_add_f32_e32 v53, v56, v78
	;; [unrolled: 1-line block ×6, first 2 shown]
	v_dual_add_f32 v59, v104, v82 :: v_dual_add_f32 v60, v143, v84
	v_add_f32_e32 v53, v53, v77
	v_add_f32_e32 v61, v144, v86
	v_dual_add_f32 v63, v106, v95 :: v_dual_add_f32 v62, v105, v94
	v_dual_add_f32 v94, v147, v135 :: v_dual_add_f32 v49, v74, v49
	v_add_f32_e32 v86, v108, v100
	v_add_f32_e32 v78, v145, v97
	v_add_f32_e32 v97, v109, v101
	v_add_f32_e32 v48, v73, v48
	v_dual_add_f32 v52, v52, v55 :: v_dual_add_f32 v55, v66, v56
	v_add_f32_e32 v56, v67, v57
	v_add_f32_e32 v73, v155, v94
	v_dual_add_f32 v67, v116, v86 :: v_dual_add_f32 v84, v107, v99
	v_add_f32_e32 v99, v149, v137
	v_dual_add_f32 v57, v111, v58 :: v_dual_add_f32 v58, v112, v59
	s_delay_alu instid0(VALU_DEP_4)
	v_add_f32_e32 v73, v163, v73
	v_dual_add_f32 v59, v151, v60 :: v_dual_add_f32 v60, v152, v61
	v_dual_add_f32 v61, v113, v62 :: v_dual_add_f32 v62, v114, v63
	v_add_f32_e32 v63, v153, v78
	v_dual_add_f32 v95, v148, v136 :: v_dual_add_f32 v82, v146, v98
	v_dual_add_f32 v98, v110, v102 :: v_dual_add_f32 v51, v52, v51
	;; [unrolled: 1-line block ×3, first 2 shown]
	v_add_f32_e32 v52, v79, v55
	v_add_f32_e32 v55, v119, v57
	;; [unrolled: 1-line block ×6, first 2 shown]
	v_dual_add_f32 v77, v156, v95 :: v_dual_add_f32 v64, v154, v82
	v_dual_add_f32 v67, v124, v67 :: v_dual_add_f32 v78, v117, v97
	v_add_f32_e32 v86, v158, v100
	v_add_f32_e32 v56, v120, v58
	;; [unrolled: 1-line block ×3, first 2 shown]
	v_dual_add_f32 v48, v81, v48 :: v_dual_add_f32 v81, v83, v49
	v_add_f32_e32 v49, v51, v50
	v_add_f32_e32 v66, v115, v84
	v_dual_add_f32 v84, v157, v99 :: v_dual_add_f32 v51, v87, v53
	v_add_f32_e32 v82, v118, v98
	v_add_f32_e32 v60, v122, v62
	v_dual_add_f32 v74, v164, v77 :: v_dual_add_f32 v49, v49, v54
	v_add_f32_e32 v77, v125, v78
	s_delay_alu instid0(VALU_DEP_4) | instskip(SKIP_1) | instid1(VALU_DEP_4)
	v_dual_add_f32 v79, v165, v84 :: v_dual_add_f32 v78, v126, v82
	v_add_f32_e32 v82, v9, v8
	v_dual_add_f32 v64, v162, v64 :: v_dual_add_f32 v53, v172, v74
	v_add_f32_e32 v66, v123, v66
	v_add_f32_e32 v80, v166, v86
	;; [unrolled: 1-line block ×5, first 2 shown]
	v_dual_add_f32 v56, v167, v57 :: v_dual_add_f32 v57, v168, v58
	v_add_f32_e32 v48, v88, v48
	v_dual_add_f32 v52, v171, v73 :: v_dual_add_f32 v73, v82, v75
	v_add_f32_e32 v62, v129, v59
	v_dual_add_f32 v58, v169, v61 :: v_dual_add_f32 v59, v170, v64
	v_dual_add_f32 v60, v131, v66 :: v_dual_add_f32 v61, v132, v67
	v_add_f32_e32 v66, v133, v77
	v_add_f32_e32 v54, v173, v79
	;; [unrolled: 1-line block ×6, first 2 shown]
	v_dual_add_f32 v65, v93, v81 :: v_dual_add_f32 v8, v127, v55
	v_add_f32_e32 v55, v174, v80
	s_and_saveexec_b32 s1, s0
	s_cbranch_execz .LBB0_11
; %bb.10:
	v_add_nc_u32_e32 v73, 0x800, v89
	v_add_nc_u32_e32 v74, 0x1400, v89
	;; [unrolled: 1-line block ×4, first 2 shown]
	ds_store_2addr_b64 v89, v[48:49], v[50:51] offset1:170
	ds_store_2addr_b64 v73, v[56:57], v[58:59] offset0:84 offset1:254
	ds_store_2addr_b64 v74, v[52:53], v[54:55] offset0:40 offset1:210
	;; [unrolled: 1-line block ×4, first 2 shown]
	ds_store_b64 v89, v[8:9] offset:13600
.LBB0_11:
	s_wait_alu 0xfffe
	s_or_b32 exec_lo, exec_lo, s1
	global_wb scope:SCOPE_SE
	s_wait_dscnt 0x0
	s_barrier_signal -1
	s_barrier_wait -1
	global_inv scope:SCOPE_SE
	s_and_saveexec_b32 s1, vcc_lo
	s_cbranch_execz .LBB0_13
; %bb.12:
	global_load_b64 v[73:74], v89, s[8:9] offset:14960
	s_add_nc_u64 s[2:3], s[8:9], 0x3a70
	s_clause 0xf
	global_load_b64 v[109:110], v89, s[2:3] offset:880
	global_load_b64 v[111:112], v89, s[2:3] offset:1760
	global_load_b64 v[113:114], v89, s[2:3] offset:2640
	global_load_b64 v[115:116], v89, s[2:3] offset:3520
	global_load_b64 v[117:118], v89, s[2:3] offset:4400
	global_load_b64 v[119:120], v89, s[2:3] offset:5280
	global_load_b64 v[121:122], v89, s[2:3] offset:6160
	global_load_b64 v[123:124], v89, s[2:3] offset:7040
	global_load_b64 v[125:126], v89, s[2:3] offset:7920
	global_load_b64 v[127:128], v89, s[2:3] offset:8800
	global_load_b64 v[129:130], v89, s[2:3] offset:9680
	global_load_b64 v[131:132], v89, s[2:3] offset:10560
	global_load_b64 v[133:134], v89, s[2:3] offset:11440
	global_load_b64 v[135:136], v89, s[2:3] offset:12320
	global_load_b64 v[137:138], v89, s[2:3] offset:13200
	global_load_b64 v[139:140], v89, s[2:3] offset:14080
	ds_load_b64 v[75:76], v89
	v_add_nc_u32_e32 v142, 0x800, v89
	v_add_nc_u32_e32 v143, 0x1000, v89
	s_wait_loadcnt_dscnt 0x1000
	v_mul_f32_e32 v77, v76, v74
	v_mul_f32_e32 v78, v75, v74
	s_delay_alu instid0(VALU_DEP_2) | instskip(NEXT) | instid1(VALU_DEP_2)
	v_fma_f32 v77, v75, v73, -v77
	v_fmac_f32_e32 v78, v76, v73
	ds_store_b64 v89, v[77:78]
	ds_load_2addr_b64 v[73:76], v89 offset0:110 offset1:220
	ds_load_2addr_b64 v[77:80], v142 offset0:74 offset1:184
	;; [unrolled: 1-line block ×3, first 2 shown]
	v_add_nc_u32_e32 v144, 0x1800, v89
	v_add_nc_u32_e32 v145, 0x1c00, v89
	;; [unrolled: 1-line block ×4, first 2 shown]
	s_wait_loadcnt_dscnt 0xf02
	v_dual_mul_f32 v141, v73, v110 :: v_dual_add_nc_u32 v148, 0x3000, v89
	ds_load_2addr_b64 v[85:88], v144 offset0:2 offset1:112
	s_wait_loadcnt_dscnt 0xb01
	v_mul_f32_e32 v153, v82, v118
	v_dual_mul_f32 v149, v74, v110 :: v_dual_mul_f32 v150, v76, v112
	v_dual_mul_f32 v110, v75, v112 :: v_dual_mul_f32 v151, v78, v114
	ds_load_2addr_b64 v[93:96], v145 offset0:94 offset1:204
	ds_load_2addr_b64 v[97:100], v146 offset0:58 offset1:168
	;; [unrolled: 1-line block ×4, first 2 shown]
	v_dual_mul_f32 v112, v77, v114 :: v_dual_fmac_f32 v141, v74, v109
	v_mul_f32_e32 v152, v80, v116
	v_mul_f32_e32 v114, v79, v116
	;; [unrolled: 1-line block ×3, first 2 shown]
	s_wait_loadcnt 0xa
	v_mul_f32_e32 v154, v84, v120
	v_mul_f32_e32 v118, v83, v120
	v_fmac_f32_e32 v110, v76, v111
	v_fmac_f32_e32 v112, v78, v113
	;; [unrolled: 1-line block ×3, first 2 shown]
	s_wait_loadcnt_dscnt 0x904
	v_mul_f32_e32 v155, v86, v122
	v_mul_f32_e32 v120, v85, v122
	s_wait_loadcnt 0x8
	v_mul_f32_e32 v156, v88, v124
	s_wait_loadcnt_dscnt 0x703
	v_dual_mul_f32 v122, v87, v124 :: v_dual_mul_f32 v157, v94, v126
	v_mul_f32_e32 v124, v93, v126
	s_wait_loadcnt_dscnt 0x100
	v_dual_mul_f32 v163, v106, v138 :: v_dual_mul_f32 v158, v96, v128
	v_dual_mul_f32 v126, v95, v128 :: v_dual_mul_f32 v159, v98, v130
	v_mul_f32_e32 v128, v97, v130
	v_mul_f32_e32 v160, v100, v132
	v_dual_mul_f32 v130, v99, v132 :: v_dual_mul_f32 v161, v102, v134
	v_mul_f32_e32 v132, v101, v134
	v_mul_f32_e32 v162, v104, v136
	;; [unrolled: 1-line block ×4, first 2 shown]
	s_wait_loadcnt 0x0
	v_mul_f32_e32 v164, v108, v140
	v_mul_f32_e32 v138, v107, v140
	v_fma_f32 v140, v73, v109, -v149
	v_fma_f32 v109, v75, v111, -v150
	;; [unrolled: 1-line block ×4, first 2 shown]
	v_fmac_f32_e32 v114, v80, v115
	v_fma_f32 v115, v81, v117, -v153
	v_fma_f32 v117, v83, v119, -v154
	v_fmac_f32_e32 v118, v84, v119
	v_fma_f32 v119, v85, v121, -v155
	v_fmac_f32_e32 v120, v86, v121
	;; [unrolled: 2-line block ×11, first 2 shown]
	ds_store_2addr_b64 v89, v[140:141], v[109:110] offset0:110 offset1:220
	ds_store_2addr_b64 v142, v[111:112], v[113:114] offset0:74 offset1:184
	;; [unrolled: 1-line block ×8, first 2 shown]
.LBB0_13:
	s_wait_alu 0xfffe
	s_or_b32 exec_lo, exec_lo, s1
	global_wb scope:SCOPE_SE
	s_wait_dscnt 0x0
	s_barrier_signal -1
	s_barrier_wait -1
	global_inv scope:SCOPE_SE
	s_and_saveexec_b32 s1, vcc_lo
	s_cbranch_execz .LBB0_15
; %bb.14:
	v_add_nc_u32_e32 v0, 0x400, v89
	v_add_nc_u32_e32 v1, 0xc00, v89
	;; [unrolled: 1-line block ×3, first 2 shown]
	ds_load_2addr_b64 v[48:51], v89 offset1:110
	v_add_nc_u32_e32 v3, 0x2800, v89
	ds_load_2addr_b64 v[56:59], v0 offset0:92 offset1:202
	ds_load_2addr_b64 v[52:55], v1 offset0:56 offset1:166
	v_add_nc_u32_e32 v0, 0x1800, v89
	v_add_nc_u32_e32 v1, 0x2000, v89
	;; [unrolled: 1-line block ×3, first 2 shown]
	ds_load_2addr_b64 v[64:67], v2 offset0:20 offset1:130
	ds_load_2addr_b64 v[60:63], v0 offset0:112 offset1:222
	;; [unrolled: 1-line block ×5, first 2 shown]
	ds_load_b64 v[69:70], v89 offset:14080
.LBB0_15:
	s_wait_alu 0xfffe
	s_or_b32 exec_lo, exec_lo, s1
	s_wait_dscnt 0x0
	v_dual_sub_f32 v87, v51, v70 :: v_dual_add_f32 v88, v70, v51
	v_dual_add_f32 v93, v69, v50 :: v_dual_sub_f32 v98, v50, v69
	v_dual_sub_f32 v110, v57, v3 :: v_dual_sub_f32 v95, v56, v2
	s_delay_alu instid0(VALU_DEP_3) | instskip(NEXT) | instid1(VALU_DEP_4)
	v_dual_mul_f32 v75, 0xbf06c442, v87 :: v_dual_add_f32 v94, v2, v56
	v_dual_mul_f32 v76, 0xbf59a7d5, v88 :: v_dual_add_f32 v125, v3, v57
	s_delay_alu instid0(VALU_DEP_3) | instskip(NEXT) | instid1(VALU_DEP_3)
	v_dual_mul_f32 v78, 0x3f65296c, v110 :: v_dual_sub_f32 v109, v59, v1
	v_fma_f32 v73, 0xbf59a7d5, v93, -v75
	s_delay_alu instid0(VALU_DEP_3) | instskip(NEXT) | instid1(VALU_DEP_4)
	v_fmamk_f32 v74, v98, 0xbf06c442, v76
	v_dual_mul_f32 v82, 0x3ee437d1, v125 :: v_dual_sub_f32 v97, v58, v0
	s_delay_alu instid0(VALU_DEP_4) | instskip(NEXT) | instid1(VALU_DEP_4)
	v_fma_f32 v79, 0x3ee437d1, v94, -v78
	v_dual_add_f32 v73, v48, v73 :: v_dual_add_f32 v126, v1, v59
	s_delay_alu instid0(VALU_DEP_4) | instskip(NEXT) | instid1(VALU_DEP_4)
	v_dual_add_f32 v74, v49, v74 :: v_dual_mul_f32 v77, 0xbf7ee86f, v109
	v_dual_fmamk_f32 v80, v95, 0x3f65296c, v82 :: v_dual_sub_f32 v111, v53, v7
	v_dual_add_f32 v96, v0, v58 :: v_dual_add_f32 v131, v7, v53
	s_delay_alu instid0(VALU_DEP_4) | instskip(SKIP_1) | instid1(VALU_DEP_4)
	v_add_f32_e32 v73, v79, v73
	v_dual_mul_f32 v85, 0x3dbcf732, v126 :: v_dual_sub_f32 v112, v55, v5
	v_add_f32_e32 v74, v80, v74
	s_delay_alu instid0(VALU_DEP_4) | instskip(SKIP_1) | instid1(VALU_DEP_4)
	v_fma_f32 v80, 0x3dbcf732, v96, -v77
	v_dual_add_f32 v99, v6, v52 :: v_dual_sub_f32 v100, v52, v6
	v_fmamk_f32 v81, v97, 0xbf7ee86f, v85
	v_mul_f32_e32 v79, 0x3f4c4adb, v111
	s_delay_alu instid0(VALU_DEP_4) | instskip(SKIP_1) | instid1(VALU_DEP_4)
	v_dual_mul_f32 v130, 0xbf1a4643, v131 :: v_dual_add_f32 v73, v80, v73
	v_dual_add_f32 v135, v5, v55 :: v_dual_mul_f32 v80, 0xbeb8f4ab, v112
	v_add_f32_e32 v74, v81, v74
	s_delay_alu instid0(VALU_DEP_4) | instskip(NEXT) | instid1(VALU_DEP_4)
	v_fma_f32 v81, 0xbf1a4643, v99, -v79
	v_dual_fmamk_f32 v83, v100, 0x3f4c4adb, v130 :: v_dual_sub_f32 v102, v54, v4
	s_delay_alu instid0(VALU_DEP_4) | instskip(SKIP_1) | instid1(VALU_DEP_3)
	v_dual_add_f32 v101, v4, v54 :: v_dual_mul_f32 v136, 0x3f6eb680, v135
	v_dual_sub_f32 v113, v65, v11 :: v_dual_add_f32 v142, v11, v65
	v_dual_add_f32 v73, v81, v73 :: v_dual_add_f32 v74, v83, v74
	s_delay_alu instid0(VALU_DEP_3) | instskip(NEXT) | instid1(VALU_DEP_4)
	v_fma_f32 v83, 0x3f6eb680, v101, -v80
	v_fmamk_f32 v84, v102, 0xbeb8f4ab, v136
	v_dual_add_f32 v103, v10, v64 :: v_dual_sub_f32 v104, v64, v10
	v_dual_mul_f32 v86, 0xbf7ba420, v142 :: v_dual_add_f32 v123, v9, v67
	s_delay_alu instid0(VALU_DEP_4) | instskip(NEXT) | instid1(VALU_DEP_4)
	v_add_f32_e32 v73, v83, v73
	v_dual_mul_f32 v81, 0xbe3c28d5, v113 :: v_dual_add_f32 v74, v84, v74
	s_delay_alu instid0(VALU_DEP_3) | instskip(SKIP_2) | instid1(VALU_DEP_4)
	v_dual_sub_f32 v114, v67, v9 :: v_dual_fmamk_f32 v107, v104, 0xbe3c28d5, v86
	v_dual_add_f32 v105, v8, v66 :: v_dual_sub_f32 v106, v66, v8
	v_mul_f32_e32 v137, 0x3f3d2fb0, v123
	v_fma_f32 v83, 0xbf7ba420, v103, -v81
	s_delay_alu instid0(VALU_DEP_4) | instskip(SKIP_1) | instid1(VALU_DEP_4)
	v_add_f32_e32 v74, v107, v74
	v_dual_mul_f32 v84, 0x3f2c7751, v114 :: v_dual_sub_f32 v115, v61, v63
	v_dual_sub_f32 v108, v60, v62 :: v_dual_fmamk_f32 v117, v106, 0x3f2c7751, v137
	v_add_f32_e32 v121, v63, v61
	v_add_f32_e32 v73, v83, v73
	s_delay_alu instid0(VALU_DEP_4) | instskip(NEXT) | instid1(VALU_DEP_4)
	v_fma_f32 v116, 0x3f3d2fb0, v105, -v84
	v_dual_mul_f32 v83, 0xbf763a35, v115 :: v_dual_add_f32 v74, v117, v74
	s_delay_alu instid0(VALU_DEP_4)
	v_mul_f32_e32 v139, 0xbe8c1d8e, v121
	global_wb scope:SCOPE_SE
	v_add_f32_e32 v73, v116, v73
	s_barrier_signal -1
	s_barrier_wait -1
	v_fmamk_f32 v117, v108, 0xbf763a35, v139
	v_add_f32_e32 v107, v62, v60
	global_inv scope:SCOPE_SE
	v_add_f32_e32 v74, v117, v74
	v_fma_f32 v116, 0xbe8c1d8e, v107, -v83
	s_delay_alu instid0(VALU_DEP_1)
	v_add_f32_e32 v73, v116, v73
	s_and_saveexec_b32 s1, vcc_lo
	s_cbranch_execz .LBB0_17
; %bb.16:
	v_dual_mul_f32 v151, 0xbe3c28d5, v104 :: v_dual_mul_f32 v128, 0xbe3c28d5, v87
	v_mul_f32_e32 v150, 0xbf7ba420, v103
	v_mul_f32_e32 v129, 0x3eb8f4ab, v110
	;; [unrolled: 1-line block ×3, first 2 shown]
	v_dual_mul_f32 v138, 0xbf59a7d5, v93 :: v_dual_mul_f32 v117, 0xbf59a7d5, v126
	v_fmamk_f32 v133, v93, 0xbf7ba420, v128
	v_mul_f32_e32 v134, 0x3f65296c, v95
	v_fmamk_f32 v154, v94, 0x3f6eb680, v129
	s_delay_alu instid0(VALU_DEP_4) | instskip(NEXT) | instid1(VALU_DEP_4)
	v_dual_mul_f32 v148, 0x3f6eb680, v101 :: v_dual_add_f32 v75, v138, v75
	v_add_f32_e32 v133, v48, v133
	v_mul_f32_e32 v149, 0xbeb8f4ab, v102
	v_fmamk_f32 v120, v97, 0x3f06c442, v117
	v_mul_f32_e32 v144, 0x3dbcf732, v96
	v_dual_mul_f32 v152, 0x3f3d2fb0, v105 :: v_dual_add_f32 v75, v48, v75
	v_add_f32_e32 v154, v154, v133
	v_mul_f32_e32 v116, 0x3f6eb680, v125
	v_mul_f32_e32 v157, 0xbf763a35, v108
	;; [unrolled: 1-line block ×3, first 2 shown]
	v_add_f32_e32 v84, v152, v84
	v_mul_f32_e32 v168, 0xbe3c28d5, v114
	v_fmamk_f32 v119, v95, 0xbeb8f4ab, v116
	v_dual_mul_f32 v124, 0xbf7ba420, v88 :: v_dual_sub_f32 v85, v85, v145
	v_mul_f32_e32 v186, 0x3dbcf732, v88
	v_mul_f32_e32 v166, 0x3f7ee86f, v112
	;; [unrolled: 1-line block ×3, first 2 shown]
	s_delay_alu instid0(VALU_DEP_4) | instskip(SKIP_3) | instid1(VALU_DEP_4)
	v_fmamk_f32 v118, v98, 0x3e3c28d5, v124
	v_mul_f32_e32 v204, 0x3f4c4adb, v114
	v_mul_f32_e32 v183, 0xbf1a4643, v125
	v_mul_f32_e32 v206, 0x3f2c7751, v112
	v_dual_fmamk_f32 v161, v98, 0x3f65296c, v187 :: v_dual_add_f32 v118, v49, v118
	v_mul_f32_e32 v212, 0x3f3d2fb0, v88
	v_mul_f32_e32 v189, 0xbf7ee86f, v87
	;; [unrolled: 1-line block ×4, first 2 shown]
	v_dual_add_f32 v119, v119, v118 :: v_dual_mul_f32 v118, 0x3f3d2fb0, v131
	v_dual_mul_f32 v127, 0xbf06c442, v98 :: v_dual_add_f32 v162, v49, v161
	v_fmamk_f32 v184, v105, 0xbf1a4643, v204
	s_delay_alu instid0(VALU_DEP_3) | instskip(NEXT) | instid1(VALU_DEP_4)
	v_add_f32_e32 v120, v120, v119
	v_fmamk_f32 v122, v100, 0xbf2c7751, v118
	v_mul_f32_e32 v143, 0x3ee437d1, v94
	v_mul_f32_e32 v119, 0xbf1a4643, v135
	v_dual_mul_f32 v153, 0x3f2c7751, v106 :: v_dual_sub_f32 v76, v76, v127
	s_delay_alu instid0(VALU_DEP_4) | instskip(NEXT) | instid1(VALU_DEP_3)
	v_dual_add_f32 v120, v122, v120 :: v_dual_mul_f32 v127, 0x3dbcf732, v121
	v_fmamk_f32 v132, v102, 0x3f4c4adb, v119
	v_dual_mul_f32 v122, 0x3ee437d1, v142 :: v_dual_add_f32 v77, v144, v77
	v_add_f32_e32 v78, v143, v78
	v_sub_f32_e32 v82, v82, v134
	s_delay_alu instid0(VALU_DEP_4) | instskip(NEXT) | instid1(VALU_DEP_4)
	v_add_f32_e32 v140, v132, v120
	v_fmamk_f32 v141, v104, 0xbf65296c, v122
	v_mul_f32_e32 v147, 0xbf1a4643, v99
	v_mul_f32_e32 v120, 0xbe8c1d8e, v123
	;; [unrolled: 1-line block ×3, first 2 shown]
	v_add_f32_e32 v78, v78, v75
	v_add_f32_e32 v140, v141, v140
	s_delay_alu instid0(VALU_DEP_4) | instskip(SKIP_1) | instid1(VALU_DEP_4)
	v_dual_add_f32 v76, v49, v76 :: v_dual_fmamk_f32 v141, v106, 0x3f763a35, v120
	v_mul_f32_e32 v133, 0x3f2c7751, v111
	v_dual_add_f32 v77, v77, v78 :: v_dual_add_f32 v78, v147, v79
	v_fmamk_f32 v156, v96, 0xbf59a7d5, v132
	s_delay_alu instid0(VALU_DEP_4) | instskip(SKIP_1) | instid1(VALU_DEP_4)
	v_add_f32_e32 v158, v141, v140
	v_dual_add_f32 v82, v82, v76 :: v_dual_mul_f32 v165, 0xbf06c442, v111
	v_add_f32_e32 v77, v78, v77
	s_delay_alu instid0(VALU_DEP_4) | instskip(SKIP_3) | instid1(VALU_DEP_4)
	v_dual_add_f32 v141, v156, v154 :: v_dual_fmamk_f32 v154, v99, 0x3f3d2fb0, v133
	v_add_f32_e32 v78, v148, v80
	v_mul_f32_e32 v140, 0xbf4c4adb, v112
	v_dual_mul_f32 v155, 0xbe8c1d8e, v107 :: v_dual_add_f32 v82, v85, v82
	v_add_f32_e32 v134, v154, v141
	v_mul_f32_e32 v141, 0x3f65296c, v113
	s_delay_alu instid0(VALU_DEP_4)
	v_dual_add_f32 v77, v78, v77 :: v_dual_fmamk_f32 v154, v101, 0xbf1a4643, v140
	v_mul_f32_e32 v146, 0x3f4c4adb, v100
	v_add_f32_e32 v78, v150, v81
	v_mul_f32_e32 v144, 0xbe8c1d8e, v125
	v_mul_f32_e32 v143, 0xbf7ba420, v123
	v_dual_add_f32 v145, v154, v134 :: v_dual_fmamk_f32 v154, v103, 0x3ee437d1, v141
	s_delay_alu instid0(VALU_DEP_4) | instskip(SKIP_1) | instid1(VALU_DEP_3)
	v_dual_add_f32 v77, v78, v77 :: v_dual_mul_f32 v134, 0xbf763a35, v114
	v_dual_sub_f32 v85, v130, v146 :: v_dual_mul_f32 v130, 0x3f7ee86f, v115
	v_add_f32_e32 v145, v154, v145
	s_delay_alu instid0(VALU_DEP_3) | instskip(NEXT) | instid1(VALU_DEP_3)
	v_dual_add_f32 v77, v84, v77 :: v_dual_fmamk_f32 v146, v105, 0xbe8c1d8e, v134
	v_dual_add_f32 v82, v85, v82 :: v_dual_sub_f32 v85, v136, v149
	v_mul_f32_e32 v147, 0xbeb8f4ab, v109
	v_dual_fmamk_f32 v156, v108, 0xbf7ee86f, v127 :: v_dual_sub_f32 v81, v139, v157
	s_delay_alu instid0(VALU_DEP_4) | instskip(SKIP_4) | instid1(VALU_DEP_4)
	v_add_f32_e32 v136, v146, v145
	v_mul_f32_e32 v146, 0xbf1a4643, v88
	v_dual_add_f32 v82, v85, v82 :: v_dual_sub_f32 v85, v86, v151
	v_mul_f32_e32 v150, 0xbf4c4adb, v87
	v_fmamk_f32 v138, v107, 0x3dbcf732, v130
	v_fmamk_f32 v86, v98, 0x3f4c4adb, v146
	s_delay_alu instid0(VALU_DEP_4) | instskip(SKIP_1) | instid1(VALU_DEP_3)
	v_dual_mul_f32 v173, 0xbf59a7d5, v125 :: v_dual_add_f32 v82, v85, v82
	v_add_f32_e32 v76, v156, v158
	v_dual_mul_f32 v156, 0x3f2c7751, v109 :: v_dual_add_f32 v79, v49, v86
	v_dual_sub_f32 v86, v137, v153 :: v_dual_mul_f32 v137, 0xbf59a7d5, v131
	v_dual_add_f32 v75, v138, v136 :: v_dual_mul_f32 v136, 0x3f6eb680, v126
	v_fmamk_f32 v84, v95, 0xbf06c442, v173
	s_delay_alu instid0(VALU_DEP_3)
	v_add_f32_e32 v82, v86, v82
	v_mul_f32_e32 v138, 0x3dbcf732, v135
	v_mul_f32_e32 v174, 0x3f3d2fb0, v126
	;; [unrolled: 1-line block ×4, first 2 shown]
	v_dual_add_f32 v78, v81, v82 :: v_dual_mul_f32 v167, 0xbf2c7751, v113
	v_dual_add_f32 v81, v155, v83 :: v_dual_fmamk_f32 v82, v93, 0xbf1a4643, v150
	v_dual_fmamk_f32 v83, v98, 0x3f763a35, v172 :: v_dual_mul_f32 v154, 0x3f763a35, v110
	v_mul_f32_e32 v139, 0x3f3d2fb0, v142
	s_delay_alu instid0(VALU_DEP_3) | instskip(NEXT) | instid1(VALU_DEP_4)
	v_add_f32_e32 v77, v81, v77
	v_add_f32_e32 v81, v48, v82
	s_delay_alu instid0(VALU_DEP_4)
	v_add_f32_e32 v83, v49, v83
	v_fmamk_f32 v85, v95, 0xbf763a35, v144
	v_fmamk_f32 v80, v97, 0x3eb8f4ab, v136
	;; [unrolled: 1-line block ×3, first 2 shown]
	v_mul_f32_e32 v175, 0x3ee437d1, v131
	v_add_f32_e32 v83, v84, v83
	v_add_f32_e32 v79, v85, v79
	v_fmamk_f32 v85, v105, 0xbf7ba420, v168
	v_fmamk_f32 v84, v97, 0xbf2c7751, v174
	v_mul_f32_e32 v145, 0x3ee437d1, v121
	s_delay_alu instid0(VALU_DEP_4) | instskip(SKIP_1) | instid1(VALU_DEP_4)
	v_dual_mul_f32 v158, 0xbf7ba420, v125 :: v_dual_add_f32 v79, v80, v79
	v_fmamk_f32 v80, v100, 0x3f06c442, v137
	v_add_f32_e32 v83, v84, v83
	v_dual_fmamk_f32 v84, v100, 0x3f65296c, v175 :: v_dual_mul_f32 v159, 0x3f65296c, v115
	v_mul_f32_e32 v149, 0xbf65296c, v111
	s_delay_alu instid0(VALU_DEP_4)
	v_dual_add_f32 v79, v80, v79 :: v_dual_fmamk_f32 v80, v102, 0xbf7ee86f, v138
	v_fmamk_f32 v86, v95, 0x3e3c28d5, v158
	v_mul_f32_e32 v152, 0x3dbcf732, v142
	v_mul_f32_e32 v157, 0xbeb8f4ab, v114
	;; [unrolled: 1-line block ×3, first 2 shown]
	v_add_f32_e32 v79, v80, v79
	v_dual_fmamk_f32 v80, v104, 0x3f2c7751, v139 :: v_dual_mul_f32 v193, 0x3f2c7751, v115
	v_fmamk_f32 v194, v98, 0x3f2c7751, v212
	v_fmamk_f32 v163, v95, 0x3f4c4adb, v183
	v_mul_f32_e32 v153, 0xbf1a4643, v121
	s_delay_alu instid0(VALU_DEP_4) | instskip(NEXT) | instid1(VALU_DEP_4)
	v_dual_add_f32 v79, v80, v79 :: v_dual_fmamk_f32 v80, v106, 0x3e3c28d5, v143
	v_add_f32_e32 v194, v49, v194
	v_mul_f32_e32 v161, 0xbf7ba420, v126
	v_mul_f32_e32 v178, 0xbf4c4adb, v115
	s_delay_alu instid0(VALU_DEP_4)
	v_dual_mul_f32 v190, 0xbe3c28d5, v110 :: v_dual_add_f32 v79, v80, v79
	v_dual_add_f32 v80, v82, v81 :: v_dual_fmamk_f32 v81, v96, 0x3f6eb680, v147
	v_fmamk_f32 v82, v108, 0xbf65296c, v145
	v_mul_f32_e32 v155, 0x3f7ee86f, v113
	v_fmamk_f32 v164, v97, 0xbe3c28d5, v161
	v_dual_mul_f32 v210, 0xbf65296c, v112 :: v_dual_mul_f32 v199, 0xbf65296c, v87
	v_dual_add_f32 v80, v81, v80 :: v_dual_fmamk_f32 v81, v99, 0xbf59a7d5, v165
	v_mul_f32_e32 v177, 0xbf1a4643, v123
	v_dual_add_f32 v163, v163, v162 :: v_dual_mul_f32 v162, 0xbe8c1d8e, v131
	s_delay_alu instid0(VALU_DEP_4) | instskip(NEXT) | instid1(VALU_DEP_4)
	v_fmamk_f32 v185, v93, 0x3ee437d1, v199
	v_add_f32_e32 v80, v81, v80
	v_fmamk_f32 v81, v101, 0x3dbcf732, v166
	v_mul_f32_e32 v209, 0x3eb8f4ab, v111
	v_fmamk_f32 v179, v100, 0xbf763a35, v162
	v_mul_f32_e32 v213, 0x3dbcf732, v125
	v_mul_f32_e32 v214, 0xbf1a4643, v126
	v_dual_add_f32 v80, v81, v80 :: v_dual_fmamk_f32 v81, v103, 0x3f3d2fb0, v167
	v_mul_f32_e32 v181, 0x3f3d2fb0, v121
	s_delay_alu instid0(VALU_DEP_4)
	v_fmamk_f32 v195, v95, 0x3f7ee86f, v213
	v_mul_f32_e32 v202, 0xbf4c4adb, v110
	v_mul_f32_e32 v215, 0xbf7ba420, v131
	v_dual_add_f32 v81, v81, v80 :: v_dual_add_f32 v80, v82, v79
	v_dual_add_f32 v79, v84, v83 :: v_dual_fmamk_f32 v82, v102, 0x3e3c28d5, v176
	v_fmamk_f32 v83, v107, 0x3ee437d1, v159
	s_delay_alu instid0(VALU_DEP_3) | instskip(SKIP_1) | instid1(VALU_DEP_4)
	v_add_f32_e32 v81, v85, v81
	v_dual_fmamk_f32 v85, v106, 0x3eb8f4ab, v148 :: v_dual_add_f32 v164, v164, v163
	v_dual_add_f32 v79, v82, v79 :: v_dual_fmamk_f32 v82, v104, 0xbf7ee86f, v152
	v_mul_f32_e32 v163, 0x3f3d2fb0, v135
	v_mul_f32_e32 v192, 0x3e3c28d5, v109
	;; [unrolled: 1-line block ×4, first 2 shown]
	v_dual_add_f32 v82, v82, v79 :: v_dual_add_f32 v79, v83, v81
	v_mul_f32_e32 v207, 0xbeb8f4ab, v113
	v_mul_f32_e32 v217, 0xbf06c442, v115
	;; [unrolled: 1-line block ×3, first 2 shown]
	s_delay_alu instid0(VALU_DEP_4) | instskip(SKIP_1) | instid1(VALU_DEP_4)
	v_dual_add_f32 v82, v85, v82 :: v_dual_fmamk_f32 v85, v98, 0x3f7ee86f, v186
	v_fmac_f32_e32 v119, 0xbf4c4adb, v102
	v_fmamk_f32 v196, v107, 0xbf59a7d5, v217
	v_mul_f32_e32 v208, 0xbf7ee86f, v114
	v_fmac_f32_e32 v127, 0x3f7ee86f, v108
	v_add_f32_e32 v85, v49, v85
	v_dual_fmac_f32 v137, 0xbf06c442, v100 :: v_dual_add_f32 v194, v195, v194
	v_fmamk_f32 v195, v97, 0x3f4c4adb, v214
	v_mul_f32_e32 v211, 0xbf06c442, v113
	s_delay_alu instid0(VALU_DEP_4) | instskip(SKIP_1) | instid1(VALU_DEP_4)
	v_dual_add_f32 v85, v86, v85 :: v_dual_fmamk_f32 v86, v97, 0xbf763a35, v160
	v_mul_f32_e32 v180, 0xbf763a35, v87
	v_dual_add_f32 v194, v195, v194 :: v_dual_fmamk_f32 v195, v100, 0x3e3c28d5, v215
	v_fmamk_f32 v198, v94, 0x3dbcf732, v219
	s_delay_alu instid0(VALU_DEP_3) | instskip(SKIP_3) | instid1(VALU_DEP_4)
	v_dual_add_f32 v85, v86, v85 :: v_dual_fmamk_f32 v84, v93, 0xbe8c1d8e, v180
	v_mul_f32_e32 v169, 0x3f6eb680, v131
	v_mul_f32_e32 v200, 0xbe8c1d8e, v142
	v_dual_add_f32 v50, v50, v48 :: v_dual_add_f32 v51, v51, v49
	v_add_f32_e32 v81, v48, v84
	v_fmamk_f32 v84, v108, 0x3f4c4adb, v153
	v_fmamk_f32 v86, v100, 0xbeb8f4ab, v169
	s_delay_alu instid0(VALU_DEP_4) | instskip(SKIP_1) | instid1(VALU_DEP_4)
	v_add_f32_e32 v50, v56, v50
	v_dual_mul_f32 v56, 0xbf65296c, v109 :: v_dual_add_f32 v51, v57, v51
	v_add_f32_e32 v82, v84, v82
	s_delay_alu instid0(VALU_DEP_4)
	v_add_f32_e32 v84, v86, v85
	v_fmamk_f32 v86, v93, 0x3dbcf732, v189
	v_mul_f32_e32 v170, 0x3ee437d1, v135
	v_dual_add_f32 v50, v58, v50 :: v_dual_mul_f32 v135, 0xbe8c1d8e, v135
	v_mul_f32_e32 v57, 0xbf59a7d5, v123
	v_mul_f32_e32 v58, 0xbf7ee86f, v111
	s_delay_alu instid0(VALU_DEP_4) | instskip(SKIP_4) | instid1(VALU_DEP_4)
	v_fmamk_f32 v85, v102, 0x3f65296c, v170
	v_mul_f32_e32 v182, 0x3f06c442, v110
	v_dual_add_f32 v50, v52, v50 :: v_dual_add_f32 v51, v59, v51
	v_fmamk_f32 v59, v106, 0x3f06c442, v57
	v_fmac_f32_e32 v124, 0xbe3c28d5, v98
	v_fmamk_f32 v83, v94, 0xbf59a7d5, v182
	s_delay_alu instid0(VALU_DEP_4) | instskip(SKIP_2) | instid1(VALU_DEP_4)
	v_dual_add_f32 v50, v54, v50 :: v_dual_add_f32 v51, v53, v51
	v_fmamk_f32 v53, v96, 0x3ee437d1, v56
	v_mul_f32_e32 v54, 0xbf7ba420, v121
	v_add_f32_e32 v81, v83, v81
	v_fmamk_f32 v83, v96, 0x3f3d2fb0, v156
	v_add_f32_e32 v50, v64, v50
	v_dual_mul_f32 v110, 0xbf2c7751, v110 :: v_dual_add_f32 v51, v55, v51
	v_mul_f32_e32 v55, 0xbf763a35, v112
	s_delay_alu instid0(VALU_DEP_4) | instskip(NEXT) | instid1(VALU_DEP_4)
	v_add_f32_e32 v81, v83, v81
	v_dual_fmamk_f32 v83, v99, 0x3ee437d1, v149 :: v_dual_add_f32 v50, v66, v50
	s_delay_alu instid0(VALU_DEP_4) | instskip(NEXT) | instid1(VALU_DEP_2)
	v_dual_add_f32 v51, v65, v51 :: v_dual_mul_f32 v64, 0xbf4c4adb, v113
	v_dual_mul_f32 v66, 0xbf06c442, v114 :: v_dual_add_f32 v81, v83, v81
	s_delay_alu instid0(VALU_DEP_3) | instskip(NEXT) | instid1(VALU_DEP_3)
	v_dual_fmamk_f32 v83, v101, 0xbf7ba420, v151 :: v_dual_add_f32 v50, v60, v50
	v_add_f32_e32 v51, v67, v51
	v_fmac_f32_e32 v158, 0xbe3c28d5, v95
	v_fmac_f32_e32 v145, 0x3f65296c, v108
	s_delay_alu instid0(VALU_DEP_4) | instskip(SKIP_3) | instid1(VALU_DEP_3)
	v_add_f32_e32 v81, v83, v81
	v_dual_fmamk_f32 v83, v103, 0x3dbcf732, v155 :: v_dual_add_f32 v50, v62, v50
	v_fma_f32 v62, 0x3dbcf732, v94, -v219
	v_mul_f32_e32 v60, 0xbe3c28d5, v115
	v_dual_fmac_f32 v116, 0x3eb8f4ab, v95 :: v_dual_add_f32 v81, v83, v81
	v_fmamk_f32 v83, v105, 0x3f6eb680, v157
	v_fmac_f32_e32 v122, 0x3f65296c, v104
	v_fmac_f32_e32 v120, 0xbf763a35, v106
	;; [unrolled: 1-line block ×3, first 2 shown]
	s_delay_alu instid0(VALU_DEP_4)
	v_dual_fmac_f32 v146, 0xbf4c4adb, v98 :: v_dual_add_f32 v81, v83, v81
	v_add_f32_e32 v83, v85, v84
	v_fmamk_f32 v85, v107, 0xbf1a4643, v178
	v_fmac_f32_e32 v144, 0x3f763a35, v95
	v_fmac_f32_e32 v118, 0x3f2c7751, v100
	;; [unrolled: 1-line block ×3, first 2 shown]
	s_delay_alu instid0(VALU_DEP_4)
	v_dual_fmac_f32 v172, 0xbf763a35, v98 :: v_dual_add_f32 v81, v85, v81
	v_dual_add_f32 v85, v48, v86 :: v_dual_fmamk_f32 v86, v94, 0xbf7ba420, v190
	v_mul_f32_e32 v171, 0xbf59a7d5, v142
	v_add_f32_e32 v8, v8, v50
	v_fmac_f32_e32 v138, 0x3f7ee86f, v102
	v_fmac_f32_e32 v174, 0x3f2c7751, v97
	;; [unrolled: 1-line block ×3, first 2 shown]
	v_fmamk_f32 v84, v104, 0x3f06c442, v171
	v_add_f32_e32 v8, v10, v8
	v_fmac_f32_e32 v148, 0xbeb8f4ab, v106
	v_fmac_f32_e32 v175, 0xbf65296c, v100
	s_delay_alu instid0(VALU_DEP_4) | instskip(SKIP_4) | instid1(VALU_DEP_4)
	v_dual_fmac_f32 v152, 0x3f7ee86f, v104 :: v_dual_add_f32 v83, v84, v83
	v_fmamk_f32 v84, v106, 0xbf4c4adb, v177
	v_add_f32_e32 v4, v4, v8
	v_fmac_f32_e32 v186, 0xbf7ee86f, v98
	v_fmac_f32_e32 v183, 0xbf4c4adb, v95
	v_dual_add_f32 v83, v84, v83 :: v_dual_add_f32 v84, v86, v85
	s_delay_alu instid0(VALU_DEP_4) | instskip(SKIP_2) | instid1(VALU_DEP_3)
	v_dual_fmamk_f32 v85, v96, 0xbe8c1d8e, v191 :: v_dual_add_f32 v4, v6, v4
	v_fmac_f32_e32 v160, 0x3f763a35, v97
	v_fmac_f32_e32 v171, 0xbf06c442, v104
	v_dual_add_f32 v84, v85, v84 :: v_dual_fmamk_f32 v85, v99, 0x3f6eb680, v209
	s_delay_alu instid0(VALU_DEP_4) | instskip(NEXT) | instid1(VALU_DEP_2)
	v_add_f32_e32 v0, v0, v4
	v_add_f32_e32 v84, v85, v84
	s_delay_alu instid0(VALU_DEP_2) | instskip(NEXT) | instid1(VALU_DEP_1)
	v_dual_fmamk_f32 v85, v101, 0x3ee437d1, v210 :: v_dual_add_f32 v0, v2, v0
	v_dual_fmac_f32 v177, 0x3f4c4adb, v106 :: v_dual_add_f32 v84, v85, v84
	s_delay_alu instid0(VALU_DEP_2) | instskip(NEXT) | instid1(VALU_DEP_1)
	v_dual_fmamk_f32 v85, v103, 0xbf59a7d5, v211 :: v_dual_add_f32 v0, v69, v0
	v_add_f32_e32 v85, v85, v84
	s_delay_alu instid0(VALU_DEP_1) | instskip(SKIP_3) | instid1(VALU_DEP_3)
	v_dual_add_f32 v85, v184, v85 :: v_dual_fmamk_f32 v184, v107, 0x3f3d2fb0, v193
	v_fmamk_f32 v86, v108, 0xbf2c7751, v181
	v_fmac_f32_e32 v181, 0x3f2c7751, v108
	v_fmac_f32_e32 v170, 0xbf65296c, v102
	v_dual_add_f32 v84, v86, v83 :: v_dual_add_f32 v83, v179, v164
	v_fmamk_f32 v86, v102, 0xbf2c7751, v163
	v_mul_f32_e32 v164, 0x3f6eb680, v142
	v_mul_f32_e32 v179, 0x3dbcf732, v123
	s_delay_alu instid0(VALU_DEP_3) | instskip(NEXT) | instid1(VALU_DEP_3)
	v_dual_mul_f32 v142, 0xbf1a4643, v142 :: v_dual_add_f32 v83, v86, v83
	v_fmamk_f32 v86, v104, 0x3eb8f4ab, v164
	s_delay_alu instid0(VALU_DEP_1) | instskip(SKIP_4) | instid1(VALU_DEP_3)
	v_dual_add_f32 v86, v86, v83 :: v_dual_add_f32 v83, v184, v85
	v_add_f32_e32 v85, v48, v185
	v_fmamk_f32 v185, v94, 0xbf1a4643, v202
	v_mul_f32_e32 v184, 0xbf59a7d5, v121
	v_fmac_f32_e32 v187, 0xbf65296c, v98
	v_add_f32_e32 v85, v185, v85
	v_fmamk_f32 v185, v96, 0xbf7ba420, v192
	s_delay_alu instid0(VALU_DEP_1) | instskip(SKIP_1) | instid1(VALU_DEP_1)
	v_add_f32_e32 v85, v185, v85
	v_fmamk_f32 v185, v99, 0xbe8c1d8e, v205
	v_add_f32_e32 v85, v185, v85
	v_fmamk_f32 v185, v101, 0x3f3d2fb0, v206
	s_delay_alu instid0(VALU_DEP_1) | instskip(SKIP_1) | instid1(VALU_DEP_1)
	v_dual_fmac_f32 v212, 0xbf2c7751, v98 :: v_dual_add_f32 v85, v185, v85
	v_fmamk_f32 v185, v103, 0x3f6eb680, v207
	v_add_f32_e32 v85, v185, v85
	v_fmamk_f32 v185, v105, 0x3dbcf732, v208
	s_delay_alu instid0(VALU_DEP_1) | instskip(NEXT) | instid1(VALU_DEP_1)
	v_dual_fmamk_f32 v188, v106, 0x3f7ee86f, v179 :: v_dual_add_f32 v85, v185, v85
	v_add_f32_e32 v86, v188, v86
	v_fmamk_f32 v188, v108, 0x3f06c442, v184
	v_fmac_f32_e32 v184, 0xbf06c442, v108
	s_delay_alu instid0(VALU_DEP_2) | instskip(SKIP_3) | instid1(VALU_DEP_2)
	v_add_f32_e32 v86, v188, v86
	v_add_f32_e32 v188, v195, v194
	v_fmamk_f32 v194, v102, 0xbf06c442, v216
	v_fmac_f32_e32 v163, 0x3f2c7751, v102
	v_dual_add_f32 v185, v194, v188 :: v_dual_fmamk_f32 v188, v104, 0xbf763a35, v200
	v_mul_f32_e32 v194, 0x3ee437d1, v123
	s_delay_alu instid0(VALU_DEP_2) | instskip(NEXT) | instid1(VALU_DEP_2)
	v_dual_fmac_f32 v200, 0x3f763a35, v104 :: v_dual_add_f32 v185, v188, v185
	v_fmamk_f32 v197, v106, 0xbf65296c, v194
	s_delay_alu instid0(VALU_DEP_1) | instskip(SKIP_2) | instid1(VALU_DEP_3)
	v_dual_add_f32 v220, v197, v185 :: v_dual_mul_f32 v197, 0x3f6eb680, v88
	v_mul_f32_e32 v185, 0x3f6eb680, v121
	v_fmac_f32_e32 v161, 0x3e3c28d5, v97
	v_fmamk_f32 v201, v98, 0x3eb8f4ab, v197
	s_delay_alu instid0(VALU_DEP_3) | instskip(SKIP_1) | instid1(VALU_DEP_3)
	v_fmamk_f32 v224, v108, 0xbeb8f4ab, v185
	v_fmac_f32_e32 v197, 0xbeb8f4ab, v98
	v_add_f32_e32 v203, v49, v201
	v_mul_f32_e32 v201, 0x3ee437d1, v126
	v_mul_f32_e32 v126, 0x3f763a35, v113
	s_delay_alu instid0(VALU_DEP_2) | instskip(SKIP_1) | instid1(VALU_DEP_1)
	v_fmamk_f32 v222, v97, 0x3f65296c, v201
	v_mul_f32_e32 v218, 0xbf2c7751, v87
	v_fmamk_f32 v195, v93, 0x3f3d2fb0, v218
	s_delay_alu instid0(VALU_DEP_1) | instskip(NEXT) | instid1(VALU_DEP_1)
	v_dual_add_f32 v195, v48, v195 :: v_dual_fmac_f32 v214, 0xbf4c4adb, v97
	v_add_f32_e32 v88, v198, v195
	v_mul_f32_e32 v198, 0x3f3d2fb0, v125
	v_mul_f32_e32 v195, 0xbe3c28d5, v111
	s_delay_alu instid0(VALU_DEP_2) | instskip(NEXT) | instid1(VALU_DEP_2)
	v_fmamk_f32 v221, v95, 0x3f2c7751, v198
	v_fmamk_f32 v125, v99, 0xbf7ba420, v195
	s_delay_alu instid0(VALU_DEP_2) | instskip(SKIP_2) | instid1(VALU_DEP_2)
	v_add_f32_e32 v221, v221, v203
	v_mul_f32_e32 v203, 0x3dbcf732, v131
	v_mul_f32_e32 v131, 0x3f65296c, v114
	v_dual_add_f32 v221, v222, v221 :: v_dual_fmamk_f32 v222, v100, 0x3f7ee86f, v203
	s_delay_alu instid0(VALU_DEP_2) | instskip(SKIP_2) | instid1(VALU_DEP_4)
	v_fmamk_f32 v223, v105, 0x3ee437d1, v131
	v_mul_f32_e32 v188, 0xbf4c4adb, v109
	v_fmac_f32_e32 v203, 0xbf7ee86f, v100
	v_add_f32_e32 v221, v222, v221
	v_fmamk_f32 v222, v102, 0x3f763a35, v135
	s_delay_alu instid0(VALU_DEP_1) | instskip(SKIP_3) | instid1(VALU_DEP_2)
	v_add_f32_e32 v221, v222, v221
	v_add_f32_e32 v85, v196, v85
	v_fmamk_f32 v196, v96, 0xbf1a4643, v188
	v_fmamk_f32 v222, v104, 0x3f4c4adb, v142
	v_add_f32_e32 v88, v196, v88
	v_mul_f32_e32 v196, 0x3f06c442, v112
	s_delay_alu instid0(VALU_DEP_2) | instskip(NEXT) | instid1(VALU_DEP_2)
	v_add_f32_e32 v88, v125, v88
	v_fmamk_f32 v125, v101, 0xbf59a7d5, v196
	v_fmac_f32_e32 v216, 0x3f06c442, v102
	s_delay_alu instid0(VALU_DEP_2) | instskip(NEXT) | instid1(VALU_DEP_1)
	v_dual_add_f32 v88, v125, v88 :: v_dual_fmamk_f32 v125, v103, 0xbe8c1d8e, v126
	v_dual_fmac_f32 v213, 0xbf7ee86f, v95 :: v_dual_add_f32 v88, v125, v88
	s_delay_alu instid0(VALU_DEP_1) | instskip(SKIP_4) | instid1(VALU_DEP_3)
	v_add_f32_e32 v223, v223, v88
	v_add_f32_e32 v88, v224, v220
	;; [unrolled: 1-line block ×3, first 2 shown]
	v_mul_f32_e32 v226, 0xbeb8f4ab, v87
	v_fmac_f32_e32 v215, 0xbe3c28d5, v100
	v_add_f32_e32 v59, v59, v220
	s_delay_alu instid0(VALU_DEP_3) | instskip(NEXT) | instid1(VALU_DEP_1)
	v_fmamk_f32 v221, v93, 0x3f6eb680, v226
	v_add_f32_e32 v123, v48, v221
	v_fmamk_f32 v221, v94, 0x3f3d2fb0, v110
	s_delay_alu instid0(VALU_DEP_1) | instskip(NEXT) | instid1(VALU_DEP_1)
	v_add_f32_e32 v109, v221, v123
	v_dual_add_f32 v52, v53, v109 :: v_dual_fmamk_f32 v53, v99, 0x3dbcf732, v58
	s_delay_alu instid0(VALU_DEP_1) | instskip(SKIP_1) | instid1(VALU_DEP_1)
	v_add_f32_e32 v52, v53, v52
	v_fmamk_f32 v53, v101, 0xbe8c1d8e, v55
	v_add_f32_e32 v52, v53, v52
	v_add_f32_e32 v53, v61, v51
	v_fmamk_f32 v61, v103, 0xbf1a4643, v64
	v_fmac_f32_e32 v201, 0xbf65296c, v97
	s_delay_alu instid0(VALU_DEP_3) | instskip(NEXT) | instid1(VALU_DEP_3)
	v_dual_fmac_f32 v198, 0xbf2c7751, v95 :: v_dual_add_f32 v53, v63, v53
	v_dual_add_f32 v52, v61, v52 :: v_dual_fmac_f32 v135, 0xbf763a35, v102
	s_delay_alu instid0(VALU_DEP_2) | instskip(SKIP_2) | instid1(VALU_DEP_3)
	v_add_f32_e32 v9, v9, v53
	v_fmamk_f32 v53, v107, 0xbf7ba420, v60
	v_fma_f32 v60, 0xbf7ba420, v107, -v60
	v_add_f32_e32 v9, v11, v9
	v_add_f32_e32 v11, v49, v124
	s_delay_alu instid0(VALU_DEP_2) | instskip(NEXT) | instid1(VALU_DEP_2)
	v_add_f32_e32 v5, v5, v9
	v_add_f32_e32 v9, v116, v11
	v_fma_f32 v11, 0x3f6eb680, v94, -v129
	s_delay_alu instid0(VALU_DEP_3) | instskip(NEXT) | instid1(VALU_DEP_3)
	v_add_f32_e32 v5, v7, v5
	v_add_f32_e32 v7, v117, v9
	v_fma_f32 v9, 0xbf59a7d5, v96, -v132
	v_fmamk_f32 v65, v108, 0x3e3c28d5, v54
	s_delay_alu instid0(VALU_DEP_4) | instskip(NEXT) | instid1(VALU_DEP_4)
	v_dual_fmac_f32 v54, 0xbe3c28d5, v108 :: v_dual_add_f32 v1, v1, v5
	v_add_f32_e32 v5, v118, v7
	v_fma_f32 v7, 0x3f3d2fb0, v99, -v133
	s_delay_alu instid0(VALU_DEP_4) | instskip(NEXT) | instid1(VALU_DEP_4)
	v_add_f32_e32 v51, v65, v59
	v_add_f32_e32 v1, v3, v1
	s_delay_alu instid0(VALU_DEP_4) | instskip(SKIP_3) | instid1(VALU_DEP_4)
	v_add_f32_e32 v3, v119, v5
	v_fmamk_f32 v59, v105, 0xbf59a7d5, v66
	v_mul_f32_e32 v125, 0x3eb8f4ab, v115
	v_fma_f32 v5, 0xbf1a4643, v101, -v140
	v_add_f32_e32 v2, v122, v3
	s_delay_alu instid0(VALU_DEP_4) | instskip(NEXT) | instid1(VALU_DEP_4)
	v_add_f32_e32 v52, v59, v52
	v_fmamk_f32 v225, v107, 0x3f6eb680, v125
	v_fma_f32 v59, 0xbf1a4643, v94, -v202
	s_delay_alu instid0(VALU_DEP_4) | instskip(NEXT) | instid1(VALU_DEP_4)
	v_add_f32_e32 v2, v120, v2
	v_add_f32_e32 v50, v53, v52
	v_fma_f32 v52, 0xbf7ba420, v93, -v128
	v_add_f32_e32 v87, v225, v223
	v_fmac_f32_e32 v57, 0xbf06c442, v106
	v_fmac_f32_e32 v142, 0xbf4c4adb, v104
	s_delay_alu instid0(VALU_DEP_4) | instskip(SKIP_1) | instid1(VALU_DEP_2)
	v_add_f32_e32 v10, v48, v52
	v_fma_f32 v52, 0xbf59a7d5, v103, -v211
	v_add_f32_e32 v8, v11, v10
	v_fma_f32 v10, 0xbf59a7d5, v94, -v182
	v_fmac_f32_e32 v143, 0xbe3c28d5, v106
	v_fma_f32 v11, 0xbf7ba420, v94, -v190
	s_delay_alu instid0(VALU_DEP_4) | instskip(SKIP_1) | instid1(VALU_DEP_2)
	v_add_f32_e32 v6, v9, v8
	v_fma_f32 v8, 0xbe8c1d8e, v94, -v154
	v_add_f32_e32 v4, v7, v6
	v_add_f32_e32 v6, v49, v146
	s_delay_alu instid0(VALU_DEP_2) | instskip(SKIP_2) | instid1(VALU_DEP_4)
	v_add_f32_e32 v3, v5, v4
	v_fma_f32 v4, 0x3ee437d1, v103, -v141
	v_fma_f32 v5, 0xbe8c1d8e, v105, -v134
	v_add_f32_e32 v6, v144, v6
	s_delay_alu instid0(VALU_DEP_3) | instskip(SKIP_1) | instid1(VALU_DEP_2)
	v_dual_add_f32 v4, v4, v3 :: v_dual_add_f32 v3, v127, v2
	v_fma_f32 v2, 0xbf1a4643, v93, -v150
	v_add_f32_e32 v4, v5, v4
	v_fma_f32 v5, 0x3dbcf732, v107, -v130
	s_delay_alu instid0(VALU_DEP_1) | instskip(SKIP_1) | instid1(VALU_DEP_2)
	v_dual_add_f32 v7, v48, v2 :: v_dual_add_f32 v2, v5, v4
	v_dual_add_f32 v1, v70, v1 :: v_dual_add_f32 v4, v136, v6
	v_add_f32_e32 v5, v8, v7
	v_fma_f32 v6, 0x3f6eb680, v96, -v147
	v_fma_f32 v8, 0xbf7ba420, v105, -v168
	v_add_f32_e32 v7, v49, v172
	s_delay_alu instid0(VALU_DEP_3) | instskip(SKIP_1) | instid1(VALU_DEP_1)
	v_add_f32_e32 v5, v6, v5
	v_fma_f32 v6, 0xbf59a7d5, v99, -v165
	v_add_f32_e32 v5, v6, v5
	v_fma_f32 v6, 0x3dbcf732, v101, -v166
	s_delay_alu instid0(VALU_DEP_1) | instskip(SKIP_1) | instid1(VALU_DEP_1)
	v_add_f32_e32 v5, v6, v5
	v_fma_f32 v6, 0x3f3d2fb0, v103, -v167
	v_add_f32_e32 v6, v6, v5
	s_delay_alu instid0(VALU_DEP_1) | instskip(SKIP_3) | instid1(VALU_DEP_3)
	v_add_f32_e32 v6, v8, v6
	v_add_f32_e32 v4, v137, v4
	v_fma_f32 v8, 0x3ee437d1, v107, -v159
	v_fmac_f32_e32 v139, 0xbf2c7751, v104
	v_dual_add_f32 v4, v138, v4 :: v_dual_fmac_f32 v173, 0x3f06c442, v95
	s_delay_alu instid0(VALU_DEP_1) | instskip(NEXT) | instid1(VALU_DEP_1)
	v_dual_add_f32 v4, v139, v4 :: v_dual_add_f32 v7, v173, v7
	v_dual_add_f32 v4, v143, v4 :: v_dual_add_f32 v7, v174, v7
	s_delay_alu instid0(VALU_DEP_1) | instskip(SKIP_1) | instid1(VALU_DEP_1)
	v_add_f32_e32 v5, v145, v4
	v_fma_f32 v4, 0xbe8c1d8e, v93, -v180
	v_add_f32_e32 v9, v48, v4
	v_add_f32_e32 v4, v8, v6
	s_delay_alu instid0(VALU_DEP_2) | instskip(SKIP_2) | instid1(VALU_DEP_1)
	v_add_f32_e32 v8, v10, v9
	v_fma_f32 v9, 0x3f3d2fb0, v96, -v156
	v_dual_add_f32 v7, v175, v7 :: v_dual_add_f32 v10, v49, v186
	v_dual_add_f32 v8, v9, v8 :: v_dual_add_f32 v7, v176, v7
	v_fma_f32 v9, 0x3ee437d1, v99, -v149
	s_delay_alu instid0(VALU_DEP_3) | instskip(NEXT) | instid1(VALU_DEP_2)
	v_dual_add_f32 v10, v158, v10 :: v_dual_fmac_f32 v153, 0xbf4c4adb, v108
	v_dual_add_f32 v7, v152, v7 :: v_dual_add_f32 v8, v9, v8
	s_delay_alu instid0(VALU_DEP_2) | instskip(SKIP_1) | instid1(VALU_DEP_3)
	v_add_f32_e32 v10, v160, v10
	v_fma_f32 v9, 0xbf7ba420, v101, -v151
	v_add_f32_e32 v6, v148, v7
	s_delay_alu instid0(VALU_DEP_2) | instskip(SKIP_1) | instid1(VALU_DEP_3)
	v_add_f32_e32 v8, v9, v8
	v_fma_f32 v9, 0x3dbcf732, v103, -v155
	v_add_f32_e32 v7, v153, v6
	v_fma_f32 v6, 0x3dbcf732, v93, -v189
	s_delay_alu instid0(VALU_DEP_1) | instskip(NEXT) | instid1(VALU_DEP_1)
	v_add_f32_e32 v6, v48, v6
	v_add_f32_e32 v6, v11, v6
	v_fma_f32 v11, 0xbe8c1d8e, v96, -v191
	s_delay_alu instid0(VALU_DEP_1) | instskip(SKIP_1) | instid1(VALU_DEP_2)
	v_dual_fmac_f32 v169, 0x3eb8f4ab, v100 :: v_dual_add_f32 v6, v11, v6
	v_fma_f32 v11, 0x3f6eb680, v99, -v209
	v_add_f32_e32 v10, v169, v10
	s_delay_alu instid0(VALU_DEP_2) | instskip(NEXT) | instid1(VALU_DEP_2)
	v_add_f32_e32 v6, v11, v6
	v_add_f32_e32 v10, v170, v10
	v_fma_f32 v11, 0x3ee437d1, v101, -v210
	v_add_f32_e32 v8, v9, v8
	v_fma_f32 v9, 0x3f6eb680, v105, -v157
	s_delay_alu instid0(VALU_DEP_4) | instskip(NEXT) | instid1(VALU_DEP_2)
	v_add_f32_e32 v10, v171, v10
	v_dual_add_f32 v11, v11, v6 :: v_dual_add_f32 v8, v9, v8
	v_fma_f32 v9, 0xbf1a4643, v107, -v178
	s_delay_alu instid0(VALU_DEP_1) | instskip(NEXT) | instid1(VALU_DEP_4)
	v_add_f32_e32 v6, v9, v8
	v_add_f32_e32 v8, v177, v10
	s_delay_alu instid0(VALU_DEP_4) | instskip(SKIP_1) | instid1(VALU_DEP_3)
	v_add_f32_e32 v10, v52, v11
	v_fma_f32 v11, 0xbf1a4643, v105, -v204
	v_add_f32_e32 v9, v181, v8
	v_fma_f32 v8, 0x3ee437d1, v93, -v199
	v_add_f32_e32 v52, v49, v187
	s_delay_alu instid0(VALU_DEP_4) | instskip(SKIP_1) | instid1(VALU_DEP_4)
	v_add_f32_e32 v10, v11, v10
	v_fma_f32 v11, 0x3f3d2fb0, v107, -v193
	v_add_f32_e32 v53, v48, v8
	s_delay_alu instid0(VALU_DEP_4) | instskip(NEXT) | instid1(VALU_DEP_3)
	v_add_f32_e32 v52, v183, v52
	v_add_f32_e32 v8, v11, v10
	s_delay_alu instid0(VALU_DEP_2) | instskip(SKIP_2) | instid1(VALU_DEP_2)
	v_dual_add_f32 v11, v59, v53 :: v_dual_add_f32 v10, v161, v52
	v_fma_f32 v52, 0xbf7ba420, v96, -v192
	v_fma_f32 v59, 0x3dbcf732, v105, -v208
	v_add_f32_e32 v11, v52, v11
	v_fma_f32 v52, 0xbe8c1d8e, v99, -v205
	s_delay_alu instid0(VALU_DEP_1) | instskip(SKIP_3) | instid1(VALU_DEP_3)
	v_add_f32_e32 v11, v52, v11
	v_add_f32_e32 v53, v49, v212
	v_fma_f32 v52, 0x3f3d2fb0, v101, -v206
	v_dual_fmac_f32 v162, 0x3f763a35, v100 :: v_dual_add_f32 v49, v49, v197
	v_dual_fmac_f32 v194, 0x3f65296c, v106 :: v_dual_add_f32 v53, v213, v53
	s_delay_alu instid0(VALU_DEP_3) | instskip(SKIP_1) | instid1(VALU_DEP_4)
	v_add_f32_e32 v11, v52, v11
	v_fma_f32 v52, 0x3f6eb680, v103, -v207
	v_add_f32_e32 v49, v198, v49
	v_fmac_f32_e32 v179, 0xbf7ee86f, v106
	v_add_f32_e32 v53, v214, v53
	v_add_f32_e32 v10, v162, v10
	v_fmac_f32_e32 v164, 0xbeb8f4ab, v104
	v_dual_add_f32 v52, v52, v11 :: v_dual_add_f32 v49, v201, v49
	s_delay_alu instid0(VALU_DEP_4) | instskip(NEXT) | instid1(VALU_DEP_4)
	v_add_f32_e32 v53, v215, v53
	v_add_f32_e32 v10, v163, v10
	s_delay_alu instid0(VALU_DEP_3) | instskip(SKIP_1) | instid1(VALU_DEP_4)
	v_add_f32_e32 v52, v59, v52
	v_fma_f32 v59, 0xbf59a7d5, v107, -v217
	v_add_f32_e32 v53, v216, v53
	s_delay_alu instid0(VALU_DEP_4) | instskip(NEXT) | instid1(VALU_DEP_1)
	v_dual_add_f32 v10, v164, v10 :: v_dual_add_f32 v49, v203, v49
	v_add_f32_e32 v10, v179, v10
	s_delay_alu instid0(VALU_DEP_2) | instskip(NEXT) | instid1(VALU_DEP_2)
	v_add_f32_e32 v49, v135, v49
	v_add_f32_e32 v11, v184, v10
	v_fma_f32 v10, 0x3f3d2fb0, v93, -v218
	s_delay_alu instid0(VALU_DEP_3) | instskip(NEXT) | instid1(VALU_DEP_2)
	v_add_f32_e32 v49, v142, v49
	v_dual_add_f32 v61, v48, v10 :: v_dual_add_f32 v10, v59, v52
	s_delay_alu instid0(VALU_DEP_2) | instskip(NEXT) | instid1(VALU_DEP_2)
	v_add_f32_e32 v57, v57, v49
	v_add_f32_e32 v59, v62, v61
	v_fma_f32 v61, 0xbf1a4643, v96, -v188
	s_delay_alu instid0(VALU_DEP_1) | instskip(SKIP_2) | instid1(VALU_DEP_2)
	v_add_f32_e32 v59, v61, v59
	v_add_f32_e32 v53, v200, v53
	v_fma_f32 v61, 0xbf7ba420, v99, -v195
	v_add_f32_e32 v52, v194, v53
	v_fma_f32 v53, 0x3f6eb680, v93, -v226
	s_delay_alu instid0(VALU_DEP_1) | instskip(SKIP_1) | instid1(VALU_DEP_1)
	v_add_f32_e32 v48, v48, v53
	v_fma_f32 v53, 0x3f3d2fb0, v94, -v110
	v_add_f32_e32 v48, v53, v48
	v_fma_f32 v53, 0x3ee437d1, v96, -v56
	v_add_f32_e32 v56, v61, v59
	v_fma_f32 v59, 0xbf59a7d5, v101, -v196
	s_delay_alu instid0(VALU_DEP_3) | instskip(SKIP_1) | instid1(VALU_DEP_3)
	v_add_f32_e32 v48, v53, v48
	v_fma_f32 v53, 0x3dbcf732, v99, -v58
	v_add_f32_e32 v56, v59, v56
	v_fma_f32 v58, 0xbe8c1d8e, v103, -v126
	s_delay_alu instid0(VALU_DEP_3) | instskip(SKIP_1) | instid1(VALU_DEP_3)
	v_add_f32_e32 v48, v53, v48
	v_fma_f32 v53, 0xbe8c1d8e, v101, -v55
	v_dual_add_f32 v55, v58, v56 :: v_dual_and_b32 v58, 0xffff, v91
	v_fma_f32 v56, 0x3ee437d1, v105, -v131
	v_fmac_f32_e32 v185, 0x3eb8f4ab, v108
	s_delay_alu instid0(VALU_DEP_4) | instskip(SKIP_1) | instid1(VALU_DEP_4)
	v_add_f32_e32 v48, v53, v48
	v_fma_f32 v53, 0xbf1a4643, v103, -v64
	v_dual_add_f32 v55, v56, v55 :: v_dual_lshlrev_b32 v58, 3, v58
	v_fma_f32 v56, 0x3f6eb680, v107, -v125
	s_delay_alu instid0(VALU_DEP_3) | instskip(SKIP_1) | instid1(VALU_DEP_1)
	v_add_f32_e32 v48, v53, v48
	v_fma_f32 v53, 0xbf59a7d5, v105, -v66
	v_dual_add_f32 v59, v53, v48 :: v_dual_add_f32 v48, v56, v55
	v_add_f32_e32 v49, v185, v52
	s_delay_alu instid0(VALU_DEP_2)
	v_dual_add_f32 v53, v54, v57 :: v_dual_add_f32 v52, v60, v59
	ds_store_2addr_b64 v58, v[0:1], v[50:51] offset1:1
	ds_store_2addr_b64 v58, v[87:88], v[85:86] offset0:2 offset1:3
	ds_store_2addr_b64 v58, v[83:84], v[81:82] offset0:4 offset1:5
	;; [unrolled: 1-line block ×7, first 2 shown]
	ds_store_b64 v58, v[52:53] offset:128
.LBB0_17:
	s_wait_alu 0xfffe
	s_or_b32 exec_lo, exec_lo, s1
	global_wb scope:SCOPE_SE
	s_wait_dscnt 0x0
	s_barrier_signal -1
	s_barrier_wait -1
	global_inv scope:SCOPE_SE
	ds_load_2addr_b64 v[0:3], v89 offset1:187
	v_add_nc_u32_e32 v4, 0xa00, v89
	v_add_nc_u32_e32 v8, 0x1600, v89
	s_wait_dscnt 0x0
	v_mul_f32_e32 v56, v25, v3
	v_mul_f32_e32 v25, v25, v2
	ds_load_2addr_b64 v[4:7], v4 offset0:54 offset1:241
	ds_load_2addr_b64 v[8:11], v8 offset0:44 offset1:231
	v_add_nc_u32_e32 v48, 0x2200, v89
	v_add_nc_u32_e32 v52, 0x2e00, v89
	v_fmac_f32_e32 v56, v24, v2
	v_fma_f32 v3, v24, v3, -v25
	s_wait_dscnt 0x1
	v_dual_mul_f32 v2, v27, v5 :: v_dual_mul_f32 v25, v21, v7
	v_dual_mul_f32 v24, v27, v4 :: v_dual_mul_f32 v21, v21, v6
	ds_load_2addr_b64 v[48:51], v48 offset0:34 offset1:221
	s_wait_dscnt 0x1
	v_mul_f32_e32 v27, v23, v9
	v_fmac_f32_e32 v25, v20, v6
	v_mul_f32_e32 v23, v23, v8
	ds_load_2addr_b64 v[52:55], v52 offset0:24 offset1:211
	v_mul_f32_e32 v57, v17, v11
	v_dual_mul_f32 v17, v17, v10 :: v_dual_fmac_f32 v2, v26, v4
	v_fma_f32 v4, v26, v5, -v24
	v_fma_f32 v5, v20, v7, -v21
	s_delay_alu instid0(VALU_DEP_4) | instskip(NEXT) | instid1(VALU_DEP_4)
	v_fmac_f32_e32 v57, v16, v10
	v_fma_f32 v10, v16, v11, -v17
	v_fma_f32 v6, v22, v9, -v23
	global_wb scope:SCOPE_SE
	s_wait_dscnt 0x0
	s_barrier_signal -1
	s_barrier_wait -1
	global_inv scope:SCOPE_SE
	v_dual_add_f32 v26, v1, v4 :: v_dual_mul_f32 v7, v19, v49
	v_fmac_f32_e32 v27, v22, v8
	v_mul_f32_e32 v8, v19, v48
	v_mul_f32_e32 v11, v15, v52
	;; [unrolled: 1-line block ×3, first 2 shown]
	s_delay_alu instid0(VALU_DEP_3) | instskip(NEXT) | instid1(VALU_DEP_3)
	v_fma_f32 v8, v18, v49, -v8
	v_fma_f32 v11, v14, v53, -v11
	v_dual_fmac_f32 v7, v18, v48 :: v_dual_add_f32 v18, v0, v2
	s_delay_alu instid0(VALU_DEP_4) | instskip(NEXT) | instid1(VALU_DEP_4)
	v_fmac_f32_e32 v15, v14, v52
	v_sub_f32_e32 v14, v6, v8
	v_sub_f32_e32 v20, v2, v27
	s_delay_alu instid0(VALU_DEP_4) | instskip(SKIP_2) | instid1(VALU_DEP_3)
	v_add_f32_e32 v16, v27, v7
	v_add_f32_e32 v48, v6, v8
	;; [unrolled: 1-line block ×3, first 2 shown]
	v_fma_f32 v19, -0.5, v16, v0
	v_sub_f32_e32 v16, v4, v11
	v_mul_f32_e32 v9, v13, v51
	v_mul_f32_e32 v13, v13, v50
	v_sub_f32_e32 v21, v15, v7
	v_dual_mul_f32 v23, v72, v54 :: v_dual_sub_f32 v24, v7, v15
	s_delay_alu instid0(VALU_DEP_4) | instskip(NEXT) | instid1(VALU_DEP_4)
	v_fmac_f32_e32 v9, v12, v50
	v_fma_f32 v12, v12, v51, -v13
	s_delay_alu instid0(VALU_DEP_4) | instskip(SKIP_3) | instid1(VALU_DEP_4)
	v_dual_add_f32 v13, v18, v27 :: v_dual_add_f32 v20, v20, v21
	v_fmamk_f32 v18, v16, 0xbf737871, v19
	v_fma_f32 v21, -0.5, v22, v0
	v_fmac_f32_e32 v19, 0x3f737871, v16
	v_add_f32_e32 v13, v13, v7
	v_fma_f32 v0, v71, v55, -v23
	v_dual_fmac_f32 v18, 0xbf167918, v14 :: v_dual_mul_f32 v17, v72, v55
	s_delay_alu instid0(VALU_DEP_3) | instskip(SKIP_1) | instid1(VALU_DEP_3)
	v_dual_fmamk_f32 v23, v14, 0x3f737871, v21 :: v_dual_add_f32 v22, v13, v15
	v_dual_sub_f32 v13, v27, v2 :: v_dual_sub_f32 v2, v2, v15
	v_dual_fmac_f32 v18, 0x3e9e377a, v20 :: v_dual_fmac_f32 v17, v71, v54
	v_fmac_f32_e32 v19, 0x3f167918, v14
	s_delay_alu instid0(VALU_DEP_3)
	v_add_f32_e32 v13, v13, v24
	v_fmac_f32_e32 v21, 0xbf737871, v14
	v_add_f32_e32 v14, v26, v6
	v_sub_f32_e32 v26, v11, v8
	v_fma_f32 v24, -0.5, v48, v1
	v_add_f32_e32 v15, v4, v11
	s_delay_alu instid0(VALU_DEP_4)
	v_dual_sub_f32 v7, v27, v7 :: v_dual_add_f32 v14, v14, v8
	v_fmac_f32_e32 v23, 0xbf167918, v16
	v_fmac_f32_e32 v19, 0x3e9e377a, v20
	v_fmamk_f32 v20, v2, 0x3f737871, v24
	v_dual_fmac_f32 v21, 0x3f167918, v16 :: v_dual_sub_f32 v16, v4, v6
	v_fmac_f32_e32 v24, 0xbf737871, v2
	v_fma_f32 v27, -0.5, v15, v1
	s_delay_alu instid0(VALU_DEP_4) | instskip(NEXT) | instid1(VALU_DEP_4)
	v_fmac_f32_e32 v20, 0x3f167918, v7
	v_dual_add_f32 v48, v14, v11 :: v_dual_add_f32 v1, v16, v26
	v_dual_fmac_f32 v23, 0x3e9e377a, v13 :: v_dual_sub_f32 v4, v6, v4
	v_dual_sub_f32 v6, v8, v11 :: v_dual_fmac_f32 v21, 0x3e9e377a, v13
	s_delay_alu instid0(VALU_DEP_3)
	v_fmac_f32_e32 v20, 0x3e9e377a, v1
	v_add_f32_e32 v8, v56, v25
	v_fmamk_f32 v26, v7, 0xbf737871, v27
	v_fmac_f32_e32 v27, 0x3f737871, v7
	v_dual_fmac_f32 v24, 0xbf167918, v7 :: v_dual_add_f32 v7, v57, v9
	v_add_f32_e32 v4, v4, v6
	s_delay_alu instid0(VALU_DEP_3) | instskip(SKIP_1) | instid1(VALU_DEP_4)
	v_dual_add_f32 v6, v8, v57 :: v_dual_fmac_f32 v27, 0xbf167918, v2
	v_fmac_f32_e32 v26, 0x3f167918, v2
	v_fmac_f32_e32 v24, 0x3e9e377a, v1
	v_add_f32_e32 v2, v25, v17
	s_delay_alu instid0(VALU_DEP_4)
	v_add_f32_e32 v1, v6, v9
	v_fmac_f32_e32 v27, 0x3e9e377a, v4
	v_fma_f32 v6, -0.5, v7, v56
	v_sub_f32_e32 v7, v5, v0
	v_dual_fmac_f32 v26, 0x3e9e377a, v4 :: v_dual_sub_f32 v15, v9, v17
	v_dual_add_f32 v8, v1, v17 :: v_dual_sub_f32 v1, v10, v12
	s_delay_alu instid0(VALU_DEP_3) | instskip(SKIP_3) | instid1(VALU_DEP_4)
	v_fmamk_f32 v11, v7, 0xbf737871, v6
	v_fmac_f32_e32 v56, -0.5, v2
	v_sub_f32_e32 v2, v25, v57
	v_fmac_f32_e32 v6, 0x3f737871, v7
	v_fmac_f32_e32 v11, 0xbf167918, v1
	s_delay_alu instid0(VALU_DEP_4) | instskip(SKIP_1) | instid1(VALU_DEP_4)
	v_fmamk_f32 v13, v1, 0x3f737871, v56
	v_sub_f32_e32 v4, v17, v9
	v_fmac_f32_e32 v6, 0x3f167918, v1
	v_dual_fmac_f32 v56, 0xbf737871, v1 :: v_dual_add_f32 v1, v10, v12
	s_delay_alu instid0(VALU_DEP_3) | instskip(SKIP_2) | instid1(VALU_DEP_4)
	v_dual_fmac_f32 v13, 0xbf167918, v7 :: v_dual_add_f32 v2, v2, v4
	v_sub_f32_e32 v14, v57, v25
	v_sub_f32_e32 v9, v57, v9
	v_fma_f32 v1, -0.5, v1, v3
	s_delay_alu instid0(VALU_DEP_3) | instskip(SKIP_2) | instid1(VALU_DEP_3)
	v_dual_fmac_f32 v11, 0x3e9e377a, v2 :: v_dual_add_f32 v4, v14, v15
	v_dual_sub_f32 v15, v0, v12 :: v_dual_fmac_f32 v56, 0x3f167918, v7
	v_dual_sub_f32 v7, v25, v17 :: v_dual_fmac_f32 v6, 0x3e9e377a, v2
	v_fmac_f32_e32 v13, 0x3e9e377a, v4
	v_add_f32_e32 v2, v5, v0
	v_dual_add_f32 v14, v3, v5 :: v_dual_sub_f32 v17, v12, v0
	s_delay_alu instid0(VALU_DEP_2) | instskip(SKIP_3) | instid1(VALU_DEP_4)
	v_fmac_f32_e32 v3, -0.5, v2
	v_dual_sub_f32 v2, v5, v10 :: v_dual_sub_f32 v5, v10, v5
	v_fmac_f32_e32 v56, 0x3e9e377a, v4
	v_fmamk_f32 v4, v7, 0x3f737871, v1
	v_fmamk_f32 v16, v9, 0xbf737871, v3
	v_fmac_f32_e32 v3, 0x3f737871, v9
	v_fmac_f32_e32 v1, 0xbf737871, v7
	v_add_f32_e32 v5, v5, v17
	s_delay_alu instid0(VALU_DEP_3) | instskip(NEXT) | instid1(VALU_DEP_3)
	v_fmac_f32_e32 v3, 0xbf167918, v7
	v_dual_add_f32 v2, v2, v15 :: v_dual_fmac_f32 v1, 0xbf167918, v9
	s_delay_alu instid0(VALU_DEP_2) | instskip(NEXT) | instid1(VALU_DEP_2)
	v_fmac_f32_e32 v3, 0x3e9e377a, v5
	v_fmac_f32_e32 v1, 0x3e9e377a, v2
	s_delay_alu instid0(VALU_DEP_2) | instskip(SKIP_1) | instid1(VALU_DEP_3)
	v_mul_f32_e32 v17, 0xbf737871, v3
	v_mul_f32_e32 v52, 0xbe9e377a, v3
	;; [unrolled: 1-line block ×3, first 2 shown]
	v_dual_fmac_f32 v16, 0x3f167918, v7 :: v_dual_add_f32 v7, v14, v10
	v_mul_f32_e32 v49, 0xbf167918, v1
	s_delay_alu instid0(VALU_DEP_4) | instskip(NEXT) | instid1(VALU_DEP_4)
	v_fmac_f32_e32 v52, 0x3f737871, v56
	v_fmac_f32_e32 v53, 0x3f167918, v6
	s_delay_alu instid0(VALU_DEP_4) | instskip(SKIP_2) | instid1(VALU_DEP_3)
	v_dual_fmac_f32 v16, 0x3e9e377a, v5 :: v_dual_add_f32 v5, v7, v12
	v_fmac_f32_e32 v4, 0x3f167918, v9
	v_dual_fmac_f32 v49, 0xbf4f1bbd, v6 :: v_dual_sub_f32 v6, v22, v8
	v_mul_f32_e32 v9, 0xbf737871, v16
	s_delay_alu instid0(VALU_DEP_3) | instskip(SKIP_1) | instid1(VALU_DEP_3)
	v_dual_add_f32 v25, v5, v0 :: v_dual_fmac_f32 v4, 0x3e9e377a, v2
	v_fmac_f32_e32 v17, 0xbe9e377a, v56
	v_dual_add_f32 v0, v22, v8 :: v_dual_fmac_f32 v9, 0x3e9e377a, v13
	s_delay_alu instid0(VALU_DEP_3) | instskip(NEXT) | instid1(VALU_DEP_3)
	v_add_f32_e32 v1, v48, v25
	v_dual_mul_f32 v7, 0xbf167918, v4 :: v_dual_add_f32 v14, v21, v17
	v_mul_f32_e32 v50, 0x3f4f1bbd, v4
	s_delay_alu instid0(VALU_DEP_4) | instskip(SKIP_1) | instid1(VALU_DEP_4)
	v_add_f32_e32 v12, v23, v9
	v_add_f32_e32 v15, v27, v52
	v_fmac_f32_e32 v7, 0x3f4f1bbd, v11
	s_delay_alu instid0(VALU_DEP_4) | instskip(SKIP_2) | instid1(VALU_DEP_4)
	v_dual_add_f32 v5, v24, v53 :: v_dual_fmac_f32 v50, 0x3f167918, v11
	v_sub_f32_e32 v10, v23, v9
	v_add_f32_e32 v4, v19, v49
	v_add_f32_e32 v2, v18, v7
	s_delay_alu instid0(VALU_DEP_4) | instskip(SKIP_4) | instid1(VALU_DEP_4)
	v_dual_sub_f32 v8, v18, v7 :: v_dual_add_f32 v3, v20, v50
	v_dual_mul_f32 v51, 0x3e9e377a, v16 :: v_dual_sub_f32 v16, v21, v17
	v_sub_f32_e32 v18, v19, v49
	v_sub_f32_e32 v7, v48, v25
	;; [unrolled: 1-line block ×3, first 2 shown]
	v_fmac_f32_e32 v51, 0x3f737871, v13
	v_sub_f32_e32 v17, v27, v52
	v_sub_f32_e32 v19, v24, v53
	s_delay_alu instid0(VALU_DEP_3)
	v_add_f32_e32 v13, v26, v51
	v_sub_f32_e32 v11, v26, v51
	ds_store_2addr_b64 v92, v[0:1], v[2:3] offset1:17
	ds_store_2addr_b64 v92, v[12:13], v[14:15] offset0:34 offset1:51
	ds_store_2addr_b64 v92, v[4:5], v[6:7] offset0:68 offset1:85
	;; [unrolled: 1-line block ×4, first 2 shown]
	global_wb scope:SCOPE_SE
	s_wait_dscnt 0x0
	s_barrier_signal -1
	s_barrier_wait -1
	global_inv scope:SCOPE_SE
	s_and_saveexec_b32 s1, s0
	s_cbranch_execz .LBB0_19
; %bb.18:
	v_add_nc_u32_e32 v4, 0x800, v89
	v_add_nc_u32_e32 v5, 0x1400, v89
	;; [unrolled: 1-line block ×4, first 2 shown]
	ds_load_2addr_b64 v[0:3], v89 offset1:170
	ds_load_2addr_b64 v[12:15], v4 offset0:84 offset1:254
	ds_load_2addr_b64 v[4:7], v5 offset0:40 offset1:210
	;; [unrolled: 1-line block ×4, first 2 shown]
	ds_load_b64 v[73:74], v89 offset:13600
.LBB0_19:
	s_wait_alu 0xfffe
	s_or_b32 exec_lo, exec_lo, s1
	s_and_saveexec_b32 s1, s0
	s_cbranch_execz .LBB0_21
; %bb.20:
	s_wait_dscnt 0x0
	v_dual_mul_f32 v21, v41, v3 :: v_dual_mul_f32 v20, v47, v74
	v_dual_mul_f32 v24, v43, v13 :: v_dual_mul_f32 v25, v45, v19
	;; [unrolled: 1-line block ×3, first 2 shown]
	s_delay_alu instid0(VALU_DEP_3) | instskip(NEXT) | instid1(VALU_DEP_3)
	v_dual_fmac_f32 v21, v40, v2 :: v_dual_fmac_f32 v20, v46, v73
	v_dual_fmac_f32 v24, v42, v12 :: v_dual_fmac_f32 v25, v44, v18
	s_delay_alu instid0(VALU_DEP_3) | instskip(NEXT) | instid1(VALU_DEP_4)
	v_fma_f32 v22, v46, v74, -v22
	v_fma_f32 v23, v40, v3, -v23
	s_delay_alu instid0(VALU_DEP_4) | instskip(SKIP_2) | instid1(VALU_DEP_4)
	v_sub_f32_e32 v3, v21, v20
	v_mul_f32_e32 v18, v45, v18
	v_sub_f32_e32 v2, v24, v25
	v_dual_mul_f32 v12, v43, v12 :: v_dual_add_f32 v27, v22, v23
	v_mul_f32_e32 v41, v33, v15
	s_delay_alu instid0(VALU_DEP_4) | instskip(SKIP_1) | instid1(VALU_DEP_4)
	v_fma_f32 v18, v44, v19, -v18
	v_add_f32_e32 v48, v25, v24
	v_fma_f32 v19, v42, v13, -v12
	v_mul_f32_e32 v42, v39, v17
	v_dual_mul_f32 v26, 0xbf7d64f0, v3 :: v_dual_fmac_f32 v41, v32, v14
	v_mul_f32_e32 v14, v33, v14
	s_delay_alu instid0(VALU_DEP_4) | instskip(NEXT) | instid1(VALU_DEP_3)
	v_dual_add_f32 v40, v18, v19 :: v_dual_mul_f32 v33, v35, v5
	v_fmamk_f32 v12, v27, 0xbe11bafb, v26
	v_dual_fmac_f32 v42, v38, v16 :: v_dual_mul_f32 v13, 0x3e903f40, v2
	v_mul_f32_e32 v45, v31, v9
	s_delay_alu instid0(VALU_DEP_4) | instskip(SKIP_1) | instid1(VALU_DEP_4)
	v_fmac_f32_e32 v33, v34, v4
	v_dual_mul_f32 v16, v39, v16 :: v_dual_mul_f32 v39, v37, v11
	v_dual_add_f32 v12, v1, v12 :: v_dual_fmamk_f32 v43, v40, 0xbf75a155, v13
	v_fma_f32 v32, v32, v15, -v14
	v_sub_f32_e32 v47, v19, v18
	s_delay_alu instid0(VALU_DEP_4) | instskip(SKIP_1) | instid1(VALU_DEP_3)
	v_fmac_f32_e32 v39, v36, v10
	v_dual_mul_f32 v10, v37, v10 :: v_dual_fmac_f32 v45, v30, v8
	v_dual_sub_f32 v46, v23, v22 :: v_dual_mul_f32 v63, 0x3f7d64f0, v47
	v_fma_f32 v26, 0xbe11bafb, v27, -v26
	s_delay_alu instid0(VALU_DEP_3) | instskip(SKIP_4) | instid1(VALU_DEP_4)
	v_fma_f32 v36, v36, v11, -v10
	v_dual_mul_f32 v4, v35, v4 :: v_dual_sub_f32 v35, v33, v39
	v_fma_f32 v38, v38, v17, -v16
	v_mul_f32_e32 v17, 0x3e903f40, v47
	v_dual_mul_f32 v66, 0xbe903f40, v3 :: v_dual_mul_f32 v73, 0xbe903f40, v46
	v_fma_f32 v34, v34, v5, -v4
	v_add_f32_e32 v4, v43, v12
	v_mul_f32_e32 v12, 0xbf0a6770, v35
	v_mul_f32_e32 v43, v29, v7
	v_fma_f32 v13, 0xbf75a155, v40, -v13
	v_dual_add_f32 v37, v36, v34 :: v_dual_add_f32 v16, v38, v32
	v_sub_f32_e32 v44, v41, v42
	s_delay_alu instid0(VALU_DEP_4) | instskip(SKIP_1) | instid1(VALU_DEP_3)
	v_fmac_f32_e32 v43, v28, v6
	v_dual_mul_f32 v6, v29, v6 :: v_dual_add_f32 v29, v20, v21
	v_dual_add_f32 v55, v39, v33 :: v_dual_mul_f32 v14, 0x3f68dda4, v44
	s_delay_alu instid0(VALU_DEP_3) | instskip(SKIP_1) | instid1(VALU_DEP_3)
	v_dual_add_f32 v58, v45, v43 :: v_dual_mul_f32 v15, 0xbf7d64f0, v46
	v_sub_f32_e32 v50, v32, v38
	v_dual_add_f32 v52, v42, v41 :: v_dual_fmamk_f32 v5, v16, 0x3ed4b147, v14
	v_mul_f32_e32 v72, 0xbf4178ce, v44
	v_sub_f32_e32 v54, v34, v36
	v_mul_f32_e32 v10, 0xbf4178ce, v3
	s_delay_alu instid0(VALU_DEP_4) | instskip(SKIP_1) | instid1(VALU_DEP_4)
	v_dual_mul_f32 v65, 0xbf0a6770, v50 :: v_dual_add_f32 v4, v5, v4
	v_fmamk_f32 v5, v37, 0x3f575c64, v12
	v_dual_mul_f32 v62, 0xbe903f40, v35 :: v_dual_mul_f32 v69, 0xbe903f40, v54
	s_delay_alu instid0(VALU_DEP_3) | instskip(SKIP_1) | instid1(VALU_DEP_4)
	v_fma_f32 v67, 0x3f575c64, v52, -v65
	v_mul_f32_e32 v78, 0xbf4178ce, v50
	v_add_f32_e32 v4, v5, v4
	v_mul_f32_e32 v5, v31, v8
	v_sub_f32_e32 v31, v43, v45
	v_fma_f32 v28, v28, v7, -v6
	v_fma_f32 v6, 0xbf75a155, v48, -v17
	;; [unrolled: 1-line block ×5, first 2 shown]
	v_mul_f32_e32 v49, 0xbf4178ce, v31
	v_mul_f32_e32 v56, 0xbf0a6770, v54
	v_fma_f32 v9, 0xbe11bafb, v48, -v63
	v_add_f32_e32 v51, v30, v28
	v_add_f32_e32 v5, v0, v5
	v_mul_f32_e32 v53, 0x3f68dda4, v50
	v_sub_f32_e32 v57, v28, v30
	v_fmamk_f32 v74, v16, 0xbf27a4f4, v72
	v_fma_f32 v14, 0x3ed4b147, v16, -v14
	v_add_f32_e32 v6, v6, v5
	v_fma_f32 v8, 0x3ed4b147, v52, -v53
	v_fmamk_f32 v7, v51, 0xbf27a4f4, v49
	v_mul_f32_e32 v75, 0x3f68dda4, v35
	v_fmac_f32_e32 v15, 0xbe11bafb, v29
	v_fmac_f32_e32 v17, 0xbf75a155, v48
	;; [unrolled: 1-line block ×3, first 2 shown]
	v_dual_add_f32 v5, v7, v4 :: v_dual_add_f32 v4, v8, v6
	v_fmamk_f32 v6, v27, 0xbf27a4f4, v10
	v_fma_f32 v7, 0x3f575c64, v55, -v56
	v_mul_f32_e32 v59, 0xbf4178ce, v57
	v_mul_f32_e32 v11, 0x3f7d64f0, v2
	;; [unrolled: 1-line block ×3, first 2 shown]
	v_add_f32_e32 v6, v1, v6
	v_add_f32_e32 v4, v7, v4
	v_fma_f32 v7, 0xbf27a4f4, v58, -v59
	v_mul_f32_e32 v61, 0xbf4178ce, v46
	v_fma_f32 v10, 0xbf27a4f4, v27, -v10
	v_add_f32_e32 v15, v0, v15
	v_fmac_f32_e32 v56, 0x3f575c64, v55
	v_add_f32_e32 v4, v7, v4
	v_fma_f32 v7, 0xbf27a4f4, v29, -v61
	v_mul_f32_e32 v60, 0xbf0a6770, v44
	v_fmac_f32_e32 v61, 0xbf27a4f4, v29
	v_add_f32_e32 v15, v17, v15
	v_fma_f32 v17, 0xbf27a4f4, v51, -v49
	v_add_f32_e32 v7, v0, v7
	v_fmamk_f32 v8, v40, 0xbe11bafb, v11
	v_fma_f32 v11, 0xbe11bafb, v40, -v11
	v_add_f32_e32 v61, v0, v61
	v_add_f32_e32 v53, v53, v15
	s_delay_alu instid0(VALU_DEP_4) | instskip(SKIP_2) | instid1(VALU_DEP_3)
	v_dual_add_f32 v9, v9, v7 :: v_dual_add_f32 v6, v8, v6
	v_add_f32_e32 v21, v0, v21
	v_add_f32_e32 v23, v23, v1
	;; [unrolled: 1-line block ×3, first 2 shown]
	v_fma_f32 v67, 0xbf75a155, v55, -v69
	v_fmamk_f32 v8, v16, 0x3f575c64, v60
	v_fma_f32 v60, 0x3f575c64, v16, -v60
	v_fmac_f32_e32 v69, 0xbf75a155, v55
	v_dual_add_f32 v21, v24, v21 :: v_dual_mul_f32 v24, 0xbf68dda4, v47
	s_delay_alu instid0(VALU_DEP_4) | instskip(SKIP_2) | instid1(VALU_DEP_4)
	v_dual_add_f32 v9, v67, v9 :: v_dual_add_f32 v6, v8, v6
	v_fmamk_f32 v8, v37, 0xbf75a155, v62
	v_dual_add_f32 v10, v1, v10 :: v_dual_fmac_f32 v63, 0xbe11bafb, v48
	v_add_f32_e32 v21, v41, v21
	s_delay_alu instid0(VALU_DEP_3) | instskip(NEXT) | instid1(VALU_DEP_3)
	v_dual_add_f32 v19, v19, v23 :: v_dual_add_f32 v6, v8, v6
	v_dual_mul_f32 v64, 0x3f68dda4, v31 :: v_dual_add_f32 v61, v63, v61
	v_mul_f32_e32 v63, 0x3f575c64, v51
	s_delay_alu instid0(VALU_DEP_4) | instskip(NEXT) | instid1(VALU_DEP_3)
	v_add_f32_e32 v21, v33, v21
	v_dual_add_f32 v19, v32, v19 :: v_dual_fmamk_f32 v8, v51, 0x3ed4b147, v64
	s_delay_alu instid0(VALU_DEP_2) | instskip(NEXT) | instid1(VALU_DEP_2)
	v_dual_mul_f32 v32, 0xbf75a155, v51 :: v_dual_add_f32 v21, v43, v21
	v_dual_add_f32 v19, v34, v19 :: v_dual_fmamk_f32 v34, v48, 0x3ed4b147, v24
	s_delay_alu instid0(VALU_DEP_3) | instskip(SKIP_2) | instid1(VALU_DEP_4)
	v_dual_add_f32 v7, v8, v6 :: v_dual_fmamk_f32 v6, v27, 0xbf75a155, v66
	v_mul_f32_e32 v8, 0x3f0a6770, v2
	v_fma_f32 v66, 0xbf75a155, v27, -v66
	v_add_f32_e32 v28, v28, v19
	s_delay_alu instid0(VALU_DEP_3) | instskip(NEXT) | instid1(VALU_DEP_3)
	v_dual_add_f32 v6, v1, v6 :: v_dual_fmamk_f32 v71, v40, 0x3f575c64, v8
	v_add_f32_e32 v66, v1, v66
	s_delay_alu instid0(VALU_DEP_2) | instskip(NEXT) | instid1(VALU_DEP_1)
	v_add_f32_e32 v71, v71, v6
	v_dual_add_f32 v71, v74, v71 :: v_dual_fmamk_f32 v74, v37, 0x3ed4b147, v75
	s_delay_alu instid0(VALU_DEP_1) | instskip(NEXT) | instid1(VALU_DEP_1)
	v_dual_mul_f32 v70, 0x3f68dda4, v57 :: v_dual_add_f32 v71, v74, v71
	v_fma_f32 v67, 0x3ed4b147, v58, -v70
	v_fmac_f32_e32 v70, 0x3ed4b147, v58
	s_delay_alu instid0(VALU_DEP_2)
	v_add_f32_e32 v6, v67, v9
	v_fma_f32 v9, 0xbf75a155, v29, -v73
	v_mul_f32_e32 v67, 0x3f0a6770, v47
	v_fma_f32 v8, 0x3f575c64, v40, -v8
	v_dual_fmac_f32 v73, 0xbf75a155, v29 :: v_dual_add_f32 v10, v11, v10
	v_fmac_f32_e32 v65, 0x3f575c64, v52
	v_add_f32_e32 v9, v0, v9
	v_fma_f32 v77, 0x3f575c64, v48, -v67
	v_dual_add_f32 v8, v8, v66 :: v_dual_fmac_f32 v67, 0x3f575c64, v48
	v_add_f32_e32 v73, v0, v73
	v_dual_add_f32 v10, v60, v10 :: v_dual_add_f32 v61, v65, v61
	s_delay_alu instid0(VALU_DEP_4) | instskip(SKIP_1) | instid1(VALU_DEP_4)
	v_add_f32_e32 v77, v77, v9
	v_fma_f32 v66, 0xbf27a4f4, v16, -v72
	v_add_f32_e32 v67, v67, v73
	v_fmamk_f32 v74, v51, 0xbe11bafb, v76
	v_fma_f32 v60, 0xbf75a155, v37, -v62
	v_fma_f32 v62, 0x3ed4b147, v51, -v64
	v_add_f32_e32 v66, v66, v8
	s_delay_alu instid0(VALU_DEP_4) | instskip(SKIP_3) | instid1(VALU_DEP_3)
	v_add_f32_e32 v9, v74, v71
	v_dual_add_f32 v71, v79, v77 :: v_dual_mul_f32 v80, 0x3f68dda4, v54
	v_dual_mul_f32 v77, 0xbf7d64f0, v57 :: v_dual_add_f32 v60, v60, v10
	v_add_f32_e32 v26, v1, v26
	v_fma_f32 v74, 0x3ed4b147, v55, -v80
	s_delay_alu instid0(VALU_DEP_3) | instskip(SKIP_1) | instid1(VALU_DEP_4)
	v_fma_f32 v72, 0xbe11bafb, v58, -v77
	v_fmac_f32_e32 v77, 0xbe11bafb, v58
	v_dual_add_f32 v26, v13, v26 :: v_dual_add_f32 v13, v62, v60
	s_delay_alu instid0(VALU_DEP_4) | instskip(SKIP_3) | instid1(VALU_DEP_4)
	v_add_f32_e32 v71, v74, v71
	v_fma_f32 v74, 0x3ed4b147, v37, -v75
	v_fmac_f32_e32 v80, 0x3ed4b147, v55
	v_dual_add_f32 v60, v69, v61 :: v_dual_mul_f32 v61, 0x3ed4b147, v27
	v_add_f32_e32 v8, v72, v71
	s_delay_alu instid0(VALU_DEP_4) | instskip(SKIP_4) | instid1(VALU_DEP_4)
	v_add_f32_e32 v66, v74, v66
	v_fma_f32 v71, 0xbe11bafb, v51, -v76
	v_fmac_f32_e32 v78, 0xbf27a4f4, v52
	v_add_f32_e32 v14, v14, v26
	v_fma_f32 v26, 0x3f575c64, v37, -v12
	v_dual_add_f32 v12, v70, v60 :: v_dual_add_f32 v11, v71, v66
	s_delay_alu instid0(VALU_DEP_4) | instskip(NEXT) | instid1(VALU_DEP_3)
	v_dual_add_f32 v67, v78, v67 :: v_dual_mul_f32 v60, 0xbf27a4f4, v40
	v_add_f32_e32 v14, v26, v14
	v_fmamk_f32 v26, v3, 0x3f68dda4, v61
	s_delay_alu instid0(VALU_DEP_3) | instskip(NEXT) | instid1(VALU_DEP_4)
	v_dual_mul_f32 v69, 0xbe11bafb, v16 :: v_dual_add_f32 v66, v80, v67
	v_fmamk_f32 v49, v2, 0x3f4178ce, v60
	s_delay_alu instid0(VALU_DEP_4) | instskip(NEXT) | instid1(VALU_DEP_4)
	v_add_f32_e32 v15, v17, v14
	v_dual_add_f32 v26, v1, v26 :: v_dual_mul_f32 v27, 0x3f575c64, v27
	s_delay_alu instid0(VALU_DEP_4) | instskip(SKIP_2) | instid1(VALU_DEP_4)
	v_add_f32_e32 v10, v77, v66
	v_mul_f32_e32 v40, 0x3ed4b147, v40
	v_mul_f32_e32 v66, 0x3f7d64f0, v54
	v_add_f32_e32 v14, v49, v26
	v_mul_f32_e32 v62, 0xbf75a155, v16
	v_mul_f32_e32 v26, 0xbe11bafb, v37
	v_add_f32_e32 v49, v56, v53
	v_fmamk_f32 v67, v2, 0x3f68dda4, v40
	v_mul_f32_e32 v37, 0xbf27a4f4, v37
	v_fmamk_f32 v17, v44, 0xbe903f40, v62
	v_fmamk_f32 v56, v35, 0xbf7d64f0, v26
	v_dual_fmac_f32 v61, 0xbf68dda4, v3 :: v_dual_fmac_f32 v40, 0xbf68dda4, v2
	v_fmac_f32_e32 v60, 0xbf4178ce, v2
	s_delay_alu instid0(VALU_DEP_4) | instskip(SKIP_2) | instid1(VALU_DEP_3)
	v_add_f32_e32 v17, v17, v14
	v_fma_f32 v2, 0x3ed4b147, v48, -v24
	v_fmac_f32_e32 v26, 0x3f7d64f0, v35
	v_dual_fmac_f32 v62, 0x3e903f40, v44 :: v_dual_add_f32 v17, v56, v17
	v_fmamk_f32 v56, v31, 0xbf0a6770, v63
	s_delay_alu instid0(VALU_DEP_1) | instskip(NEXT) | instid1(VALU_DEP_1)
	v_dual_add_f32 v17, v56, v17 :: v_dual_fmamk_f32 v56, v3, 0x3f0a6770, v27
	v_dual_fmac_f32 v59, 0xbf27a4f4, v58 :: v_dual_add_f32 v56, v1, v56
	s_delay_alu instid0(VALU_DEP_1) | instskip(SKIP_2) | instid1(VALU_DEP_3)
	v_dual_mul_f32 v53, 0xbf68dda4, v46 :: v_dual_add_f32 v14, v59, v49
	v_mul_f32_e32 v59, 0xbf4178ce, v47
	v_mul_f32_e32 v46, 0xbf0a6770, v46
	v_dual_add_f32 v56, v67, v56 :: v_dual_fmamk_f32 v49, v29, 0x3ed4b147, v53
	v_fmamk_f32 v67, v44, 0x3f7d64f0, v69
	s_delay_alu instid0(VALU_DEP_4) | instskip(SKIP_2) | instid1(VALU_DEP_4)
	v_fmamk_f32 v64, v48, 0xbf27a4f4, v59
	v_mul_f32_e32 v65, 0x3e903f40, v50
	v_fmac_f32_e32 v69, 0xbf7d64f0, v44
	v_dual_add_f32 v49, v0, v49 :: v_dual_add_f32 v56, v67, v56
	s_delay_alu instid0(VALU_DEP_1) | instskip(NEXT) | instid1(VALU_DEP_4)
	v_add_f32_e32 v49, v64, v49
	v_fmamk_f32 v64, v52, 0xbf75a155, v65
	s_delay_alu instid0(VALU_DEP_1) | instskip(SKIP_2) | instid1(VALU_DEP_1)
	v_add_f32_e32 v16, v64, v49
	v_mul_f32_e32 v64, 0x3f0a6770, v57
	v_fmamk_f32 v49, v55, 0xbe11bafb, v66
	v_dual_fmac_f32 v63, 0x3f0a6770, v31 :: v_dual_add_f32 v16, v49, v16
	s_delay_alu instid0(VALU_DEP_3) | instskip(SKIP_3) | instid1(VALU_DEP_4)
	v_fmamk_f32 v49, v58, 0x3f575c64, v64
	v_fmac_f32_e32 v27, 0xbf0a6770, v3
	v_fma_f32 v3, 0x3f575c64, v29, -v46
	v_add_f32_e32 v21, v45, v21
	v_add_f32_e32 v16, v49, v16
	v_fmamk_f32 v49, v29, 0x3f575c64, v46
	s_delay_alu instid0(VALU_DEP_3) | instskip(SKIP_1) | instid1(VALU_DEP_3)
	v_add_f32_e32 v21, v39, v21
	v_mul_f32_e32 v41, 0xbf7d64f0, v50
	v_add_f32_e32 v47, v0, v49
	v_fmamk_f32 v49, v31, 0x3e903f40, v32
	v_fmac_f32_e32 v32, 0xbe903f40, v31
	s_delay_alu instid0(VALU_DEP_3) | instskip(SKIP_2) | instid1(VALU_DEP_2)
	v_dual_add_f32 v33, v34, v47 :: v_dual_fmamk_f32 v34, v52, 0xbe11bafb, v41
	v_fmamk_f32 v67, v35, 0x3f4178ce, v37
	v_fmac_f32_e32 v37, 0xbf4178ce, v35
	v_add_f32_e32 v23, v67, v56
	s_delay_alu instid0(VALU_DEP_1) | instskip(SKIP_1) | instid1(VALU_DEP_1)
	v_add_f32_e32 v19, v49, v23
	v_dual_add_f32 v23, v30, v28 :: v_dual_mul_f32 v30, 0xbf4178ce, v54
	v_dual_add_f32 v23, v36, v23 :: v_dual_mul_f32 v36, 0xbe903f40, v57
	v_add_f32_e32 v28, v34, v33
	s_delay_alu instid0(VALU_DEP_2) | instskip(SKIP_1) | instid1(VALU_DEP_2)
	v_dual_fmamk_f32 v34, v55, 0xbf27a4f4, v30 :: v_dual_add_f32 v23, v38, v23
	v_add_f32_e32 v38, v42, v21
	v_add_f32_e32 v28, v34, v28
	v_fmamk_f32 v34, v58, 0xbf75a155, v36
	s_delay_alu instid0(VALU_DEP_4) | instskip(NEXT) | instid1(VALU_DEP_2)
	v_add_f32_e32 v23, v18, v23
	v_add_f32_e32 v18, v34, v28
	s_delay_alu instid0(VALU_DEP_2) | instskip(SKIP_1) | instid1(VALU_DEP_1)
	v_add_f32_e32 v21, v22, v23
	v_fma_f32 v23, 0x3ed4b147, v29, -v53
	v_dual_add_f32 v22, v25, v38 :: v_dual_add_f32 v23, v0, v23
	v_add_f32_e32 v0, v0, v3
	s_delay_alu instid0(VALU_DEP_2) | instskip(SKIP_1) | instid1(VALU_DEP_3)
	v_add_f32_e32 v20, v20, v22
	v_add_nc_u32_e32 v22, 0x800, v89
	v_add_f32_e32 v0, v2, v0
	v_fma_f32 v2, 0xbe11bafb, v52, -v41
	s_delay_alu instid0(VALU_DEP_1) | instskip(SKIP_1) | instid1(VALU_DEP_1)
	v_dual_add_f32 v33, v1, v61 :: v_dual_add_f32 v0, v2, v0
	v_fma_f32 v2, 0xbf27a4f4, v55, -v30
	v_dual_add_f32 v33, v60, v33 :: v_dual_add_f32 v2, v2, v0
	s_delay_alu instid0(VALU_DEP_1) | instskip(NEXT) | instid1(VALU_DEP_1)
	v_add_f32_e32 v33, v62, v33
	v_add_f32_e32 v25, v26, v33
	v_fma_f32 v26, 0xbf27a4f4, v48, -v59
	s_delay_alu instid0(VALU_DEP_1) | instskip(SKIP_2) | instid1(VALU_DEP_2)
	v_add_f32_e32 v3, v26, v23
	v_fma_f32 v26, 0xbf75a155, v58, -v36
	v_fma_f32 v23, 0xbf75a155, v52, -v65
	v_dual_add_f32 v2, v26, v2 :: v_dual_add_f32 v1, v1, v27
	s_delay_alu instid0(VALU_DEP_2) | instskip(SKIP_1) | instid1(VALU_DEP_3)
	v_add_f32_e32 v3, v23, v3
	v_fma_f32 v23, 0xbe11bafb, v55, -v66
	v_add_f32_e32 v1, v40, v1
	s_delay_alu instid0(VALU_DEP_2) | instskip(SKIP_1) | instid1(VALU_DEP_1)
	v_add_f32_e32 v3, v23, v3
	v_fma_f32 v23, 0x3f575c64, v58, -v64
	v_dual_add_f32 v1, v69, v1 :: v_dual_add_f32 v0, v23, v3
	v_add_nc_u32_e32 v23, 0x1400, v89
	s_delay_alu instid0(VALU_DEP_2) | instskip(SKIP_2) | instid1(VALU_DEP_3)
	v_add_f32_e32 v24, v37, v1
	v_add_f32_e32 v1, v63, v25
	v_add_nc_u32_e32 v25, 0x2800, v89
	v_dual_add_f32 v3, v32, v24 :: v_dual_add_nc_u32 v24, 0x1e00, v89
	ds_store_2addr_b64 v89, v[20:21], v[18:19] offset1:170
	ds_store_2addr_b64 v22, v[16:17], v[14:15] offset0:84 offset1:254
	ds_store_2addr_b64 v23, v[12:13], v[10:11] offset0:40 offset1:210
	;; [unrolled: 1-line block ×4, first 2 shown]
	ds_store_b64 v89, v[2:3] offset:13600
.LBB0_21:
	s_wait_alu 0xfffe
	s_or_b32 exec_lo, exec_lo, s1
	global_wb scope:SCOPE_SE
	s_wait_dscnt 0x0
	s_barrier_signal -1
	s_barrier_wait -1
	global_inv scope:SCOPE_SE
	s_and_b32 exec_lo, exec_lo, vcc_lo
	s_cbranch_execz .LBB0_23
; %bb.22:
	global_load_b64 v[0:1], v89, s[8:9]
	ds_load_b64 v[2:3], v89
	v_mad_co_u64_u32 v[6:7], null, s4, v90, 0
	s_mov_b32 s0, 0xfa401186
	s_mov_b32 s1, 0x3f4185e2
	s_mul_u64 s[2:3], s[4:5], 0x370
	s_wait_loadcnt_dscnt 0x0
	v_mul_f32_e32 v4, v3, v1
	v_mul_f32_e32 v1, v2, v1
	s_delay_alu instid0(VALU_DEP_2) | instskip(NEXT) | instid1(VALU_DEP_2)
	v_fmac_f32_e32 v4, v2, v0
	v_fma_f32 v2, v0, v3, -v1
	s_delay_alu instid0(VALU_DEP_2) | instskip(NEXT) | instid1(VALU_DEP_2)
	v_cvt_f64_f32_e32 v[0:1], v4
	v_cvt_f64_f32_e32 v[2:3], v2
	v_mad_co_u64_u32 v[4:5], null, s6, v68, 0
	s_wait_alu 0xfffe
	s_delay_alu instid0(VALU_DEP_3) | instskip(NEXT) | instid1(VALU_DEP_3)
	v_mul_f64_e32 v[0:1], s[0:1], v[0:1]
	v_mul_f64_e32 v[2:3], s[0:1], v[2:3]
	s_delay_alu instid0(VALU_DEP_2) | instskip(NEXT) | instid1(VALU_DEP_2)
	v_cvt_f32_f64_e32 v0, v[0:1]
	v_cvt_f32_f64_e32 v1, v[2:3]
	v_dual_mov_b32 v3, v7 :: v_dual_mov_b32 v2, v5
	s_delay_alu instid0(VALU_DEP_1) | instskip(SKIP_1) | instid1(VALU_DEP_2)
	v_mad_co_u64_u32 v[7:8], null, s7, v68, v[2:3]
	v_mad_co_u64_u32 v[2:3], null, s5, v90, v[3:4]
	v_mov_b32_e32 v5, v7
	s_delay_alu instid0(VALU_DEP_2) | instskip(NEXT) | instid1(VALU_DEP_2)
	v_mov_b32_e32 v7, v2
	v_lshlrev_b64_e32 v[2:3], 3, v[4:5]
	s_delay_alu instid0(VALU_DEP_2) | instskip(NEXT) | instid1(VALU_DEP_2)
	v_lshlrev_b64_e32 v[4:5], 3, v[6:7]
	v_add_co_u32 v2, vcc_lo, s12, v2
	s_delay_alu instid0(VALU_DEP_3) | instskip(NEXT) | instid1(VALU_DEP_2)
	v_add_co_ci_u32_e32 v3, vcc_lo, s13, v3, vcc_lo
	v_add_co_u32 v4, vcc_lo, v2, v4
	s_wait_alu 0xfffd
	s_delay_alu instid0(VALU_DEP_2)
	v_add_co_ci_u32_e32 v5, vcc_lo, v3, v5, vcc_lo
	global_store_b64 v[4:5], v[0:1], off
	global_load_b64 v[6:7], v89, s[8:9] offset:880
	ds_load_2addr_b64 v[0:3], v89 offset0:110 offset1:220
	v_add_co_u32 v4, vcc_lo, v4, s2
	s_wait_alu 0xfffd
	v_add_co_ci_u32_e32 v5, vcc_lo, s3, v5, vcc_lo
	s_wait_loadcnt_dscnt 0x0
	v_mul_f32_e32 v8, v1, v7
	v_mul_f32_e32 v7, v0, v7
	s_delay_alu instid0(VALU_DEP_2) | instskip(NEXT) | instid1(VALU_DEP_2)
	v_fmac_f32_e32 v8, v0, v6
	v_fma_f32 v6, v6, v1, -v7
	s_delay_alu instid0(VALU_DEP_2) | instskip(NEXT) | instid1(VALU_DEP_2)
	v_cvt_f64_f32_e32 v[0:1], v8
	v_cvt_f64_f32_e32 v[6:7], v6
	s_delay_alu instid0(VALU_DEP_2) | instskip(NEXT) | instid1(VALU_DEP_2)
	v_mul_f64_e32 v[0:1], s[0:1], v[0:1]
	v_mul_f64_e32 v[6:7], s[0:1], v[6:7]
	s_delay_alu instid0(VALU_DEP_2) | instskip(NEXT) | instid1(VALU_DEP_2)
	v_cvt_f32_f64_e32 v0, v[0:1]
	v_cvt_f32_f64_e32 v1, v[6:7]
	global_store_b64 v[4:5], v[0:1], off
	global_load_b64 v[0:1], v89, s[8:9] offset:1760
	v_add_co_u32 v4, vcc_lo, v4, s2
	s_wait_alu 0xfffd
	v_add_co_ci_u32_e32 v5, vcc_lo, s3, v5, vcc_lo
	s_wait_loadcnt 0x0
	v_mul_f32_e32 v6, v3, v1
	v_mul_f32_e32 v1, v2, v1
	s_delay_alu instid0(VALU_DEP_2) | instskip(NEXT) | instid1(VALU_DEP_2)
	v_fmac_f32_e32 v6, v2, v0
	v_fma_f32 v2, v0, v3, -v1
	s_delay_alu instid0(VALU_DEP_2) | instskip(NEXT) | instid1(VALU_DEP_2)
	v_cvt_f64_f32_e32 v[0:1], v6
	v_cvt_f64_f32_e32 v[2:3], v2
	s_delay_alu instid0(VALU_DEP_2) | instskip(NEXT) | instid1(VALU_DEP_2)
	v_mul_f64_e32 v[0:1], s[0:1], v[0:1]
	v_mul_f64_e32 v[2:3], s[0:1], v[2:3]
	s_delay_alu instid0(VALU_DEP_2) | instskip(NEXT) | instid1(VALU_DEP_2)
	v_cvt_f32_f64_e32 v0, v[0:1]
	v_cvt_f32_f64_e32 v1, v[2:3]
	global_store_b64 v[4:5], v[0:1], off
	global_load_b64 v[6:7], v89, s[8:9] offset:2640
	v_add_nc_u32_e32 v0, 0x800, v89
	v_add_co_u32 v4, vcc_lo, v4, s2
	s_wait_alu 0xfffd
	v_add_co_ci_u32_e32 v5, vcc_lo, s3, v5, vcc_lo
	ds_load_2addr_b64 v[0:3], v0 offset0:74 offset1:184
	s_wait_loadcnt_dscnt 0x0
	v_mul_f32_e32 v8, v1, v7
	v_mul_f32_e32 v7, v0, v7
	s_delay_alu instid0(VALU_DEP_2) | instskip(NEXT) | instid1(VALU_DEP_2)
	v_fmac_f32_e32 v8, v0, v6
	v_fma_f32 v6, v6, v1, -v7
	s_delay_alu instid0(VALU_DEP_2) | instskip(NEXT) | instid1(VALU_DEP_2)
	v_cvt_f64_f32_e32 v[0:1], v8
	v_cvt_f64_f32_e32 v[6:7], v6
	s_delay_alu instid0(VALU_DEP_2) | instskip(NEXT) | instid1(VALU_DEP_2)
	v_mul_f64_e32 v[0:1], s[0:1], v[0:1]
	v_mul_f64_e32 v[6:7], s[0:1], v[6:7]
	s_delay_alu instid0(VALU_DEP_2) | instskip(NEXT) | instid1(VALU_DEP_2)
	v_cvt_f32_f64_e32 v0, v[0:1]
	v_cvt_f32_f64_e32 v1, v[6:7]
	global_store_b64 v[4:5], v[0:1], off
	global_load_b64 v[0:1], v89, s[8:9] offset:3520
	v_add_co_u32 v4, vcc_lo, v4, s2
	s_wait_alu 0xfffd
	v_add_co_ci_u32_e32 v5, vcc_lo, s3, v5, vcc_lo
	s_wait_loadcnt 0x0
	v_mul_f32_e32 v6, v3, v1
	v_mul_f32_e32 v1, v2, v1
	s_delay_alu instid0(VALU_DEP_2) | instskip(NEXT) | instid1(VALU_DEP_2)
	v_fmac_f32_e32 v6, v2, v0
	v_fma_f32 v2, v0, v3, -v1
	s_delay_alu instid0(VALU_DEP_2) | instskip(NEXT) | instid1(VALU_DEP_2)
	v_cvt_f64_f32_e32 v[0:1], v6
	v_cvt_f64_f32_e32 v[2:3], v2
	s_delay_alu instid0(VALU_DEP_2) | instskip(NEXT) | instid1(VALU_DEP_2)
	v_mul_f64_e32 v[0:1], s[0:1], v[0:1]
	v_mul_f64_e32 v[2:3], s[0:1], v[2:3]
	s_delay_alu instid0(VALU_DEP_2) | instskip(NEXT) | instid1(VALU_DEP_2)
	v_cvt_f32_f64_e32 v0, v[0:1]
	v_cvt_f32_f64_e32 v1, v[2:3]
	global_store_b64 v[4:5], v[0:1], off
	global_load_b64 v[6:7], v89, s[8:9] offset:4400
	v_add_nc_u32_e32 v0, 0x1000, v89
	v_add_co_u32 v4, vcc_lo, v4, s2
	s_wait_alu 0xfffd
	v_add_co_ci_u32_e32 v5, vcc_lo, s3, v5, vcc_lo
	ds_load_2addr_b64 v[0:3], v0 offset0:38 offset1:148
	;; [unrolled: 42-line block ×7, first 2 shown]
	s_wait_loadcnt_dscnt 0x0
	v_mul_f32_e32 v8, v1, v7
	v_mul_f32_e32 v7, v0, v7
	s_delay_alu instid0(VALU_DEP_2) | instskip(NEXT) | instid1(VALU_DEP_2)
	v_fmac_f32_e32 v8, v0, v6
	v_fma_f32 v6, v6, v1, -v7
	s_delay_alu instid0(VALU_DEP_2) | instskip(NEXT) | instid1(VALU_DEP_2)
	v_cvt_f64_f32_e32 v[0:1], v8
	v_cvt_f64_f32_e32 v[6:7], v6
	s_delay_alu instid0(VALU_DEP_2) | instskip(NEXT) | instid1(VALU_DEP_2)
	v_mul_f64_e32 v[0:1], s[0:1], v[0:1]
	v_mul_f64_e32 v[6:7], s[0:1], v[6:7]
	s_delay_alu instid0(VALU_DEP_2) | instskip(NEXT) | instid1(VALU_DEP_2)
	v_cvt_f32_f64_e32 v0, v[0:1]
	v_cvt_f32_f64_e32 v1, v[6:7]
	global_store_b64 v[4:5], v[0:1], off
	global_load_b64 v[0:1], v89, s[8:9] offset:14080
	s_wait_loadcnt 0x0
	v_mul_f32_e32 v6, v3, v1
	v_mul_f32_e32 v1, v2, v1
	s_delay_alu instid0(VALU_DEP_2) | instskip(NEXT) | instid1(VALU_DEP_2)
	v_fmac_f32_e32 v6, v2, v0
	v_fma_f32 v2, v0, v3, -v1
	s_delay_alu instid0(VALU_DEP_2) | instskip(NEXT) | instid1(VALU_DEP_2)
	v_cvt_f64_f32_e32 v[0:1], v6
	v_cvt_f64_f32_e32 v[2:3], v2
	s_delay_alu instid0(VALU_DEP_2) | instskip(NEXT) | instid1(VALU_DEP_2)
	v_mul_f64_e32 v[0:1], s[0:1], v[0:1]
	v_mul_f64_e32 v[2:3], s[0:1], v[2:3]
	s_delay_alu instid0(VALU_DEP_2) | instskip(NEXT) | instid1(VALU_DEP_2)
	v_cvt_f32_f64_e32 v0, v[0:1]
	v_cvt_f32_f64_e32 v1, v[2:3]
	v_add_co_u32 v2, vcc_lo, v4, s2
	s_wait_alu 0xfffd
	v_add_co_ci_u32_e32 v3, vcc_lo, s3, v5, vcc_lo
	global_store_b64 v[2:3], v[0:1], off
.LBB0_23:
	s_nop 0
	s_sendmsg sendmsg(MSG_DEALLOC_VGPRS)
	s_endpgm
	.section	.rodata,"a",@progbits
	.p2align	6, 0x0
	.amdhsa_kernel bluestein_single_back_len1870_dim1_sp_op_CI_CI
		.amdhsa_group_segment_fixed_size 14960
		.amdhsa_private_segment_fixed_size 0
		.amdhsa_kernarg_size 104
		.amdhsa_user_sgpr_count 2
		.amdhsa_user_sgpr_dispatch_ptr 0
		.amdhsa_user_sgpr_queue_ptr 0
		.amdhsa_user_sgpr_kernarg_segment_ptr 1
		.amdhsa_user_sgpr_dispatch_id 0
		.amdhsa_user_sgpr_private_segment_size 0
		.amdhsa_wavefront_size32 1
		.amdhsa_uses_dynamic_stack 0
		.amdhsa_enable_private_segment 0
		.amdhsa_system_sgpr_workgroup_id_x 1
		.amdhsa_system_sgpr_workgroup_id_y 0
		.amdhsa_system_sgpr_workgroup_id_z 0
		.amdhsa_system_sgpr_workgroup_info 0
		.amdhsa_system_vgpr_workitem_id 0
		.amdhsa_next_free_vgpr 227
		.amdhsa_next_free_sgpr 14
		.amdhsa_reserve_vcc 1
		.amdhsa_float_round_mode_32 0
		.amdhsa_float_round_mode_16_64 0
		.amdhsa_float_denorm_mode_32 3
		.amdhsa_float_denorm_mode_16_64 3
		.amdhsa_fp16_overflow 0
		.amdhsa_workgroup_processor_mode 1
		.amdhsa_memory_ordered 1
		.amdhsa_forward_progress 0
		.amdhsa_round_robin_scheduling 0
		.amdhsa_exception_fp_ieee_invalid_op 0
		.amdhsa_exception_fp_denorm_src 0
		.amdhsa_exception_fp_ieee_div_zero 0
		.amdhsa_exception_fp_ieee_overflow 0
		.amdhsa_exception_fp_ieee_underflow 0
		.amdhsa_exception_fp_ieee_inexact 0
		.amdhsa_exception_int_div_zero 0
	.end_amdhsa_kernel
	.text
.Lfunc_end0:
	.size	bluestein_single_back_len1870_dim1_sp_op_CI_CI, .Lfunc_end0-bluestein_single_back_len1870_dim1_sp_op_CI_CI
                                        ; -- End function
	.section	.AMDGPU.csdata,"",@progbits
; Kernel info:
; codeLenInByte = 23484
; NumSgprs: 16
; NumVgprs: 227
; ScratchSize: 0
; MemoryBound: 0
; FloatMode: 240
; IeeeMode: 1
; LDSByteSize: 14960 bytes/workgroup (compile time only)
; SGPRBlocks: 1
; VGPRBlocks: 28
; NumSGPRsForWavesPerEU: 16
; NumVGPRsForWavesPerEU: 227
; Occupancy: 6
; WaveLimiterHint : 1
; COMPUTE_PGM_RSRC2:SCRATCH_EN: 0
; COMPUTE_PGM_RSRC2:USER_SGPR: 2
; COMPUTE_PGM_RSRC2:TRAP_HANDLER: 0
; COMPUTE_PGM_RSRC2:TGID_X_EN: 1
; COMPUTE_PGM_RSRC2:TGID_Y_EN: 0
; COMPUTE_PGM_RSRC2:TGID_Z_EN: 0
; COMPUTE_PGM_RSRC2:TIDIG_COMP_CNT: 0
	.text
	.p2alignl 7, 3214868480
	.fill 96, 4, 3214868480
	.type	__hip_cuid_ebe27c71193190e3,@object ; @__hip_cuid_ebe27c71193190e3
	.section	.bss,"aw",@nobits
	.globl	__hip_cuid_ebe27c71193190e3
__hip_cuid_ebe27c71193190e3:
	.byte	0                               ; 0x0
	.size	__hip_cuid_ebe27c71193190e3, 1

	.ident	"AMD clang version 19.0.0git (https://github.com/RadeonOpenCompute/llvm-project roc-6.4.0 25133 c7fe45cf4b819c5991fe208aaa96edf142730f1d)"
	.section	".note.GNU-stack","",@progbits
	.addrsig
	.addrsig_sym __hip_cuid_ebe27c71193190e3
	.amdgpu_metadata
---
amdhsa.kernels:
  - .args:
      - .actual_access:  read_only
        .address_space:  global
        .offset:         0
        .size:           8
        .value_kind:     global_buffer
      - .actual_access:  read_only
        .address_space:  global
        .offset:         8
        .size:           8
        .value_kind:     global_buffer
      - .actual_access:  read_only
        .address_space:  global
        .offset:         16
        .size:           8
        .value_kind:     global_buffer
      - .actual_access:  read_only
        .address_space:  global
        .offset:         24
        .size:           8
        .value_kind:     global_buffer
      - .actual_access:  read_only
        .address_space:  global
        .offset:         32
        .size:           8
        .value_kind:     global_buffer
      - .offset:         40
        .size:           8
        .value_kind:     by_value
      - .address_space:  global
        .offset:         48
        .size:           8
        .value_kind:     global_buffer
      - .address_space:  global
        .offset:         56
        .size:           8
        .value_kind:     global_buffer
      - .address_space:  global
        .offset:         64
        .size:           8
        .value_kind:     global_buffer
      - .address_space:  global
        .offset:         72
        .size:           8
        .value_kind:     global_buffer
      - .offset:         80
        .size:           4
        .value_kind:     by_value
      - .address_space:  global
        .offset:         88
        .size:           8
        .value_kind:     global_buffer
      - .address_space:  global
        .offset:         96
        .size:           8
        .value_kind:     global_buffer
    .group_segment_fixed_size: 14960
    .kernarg_segment_align: 8
    .kernarg_segment_size: 104
    .language:       OpenCL C
    .language_version:
      - 2
      - 0
    .max_flat_workgroup_size: 187
    .name:           bluestein_single_back_len1870_dim1_sp_op_CI_CI
    .private_segment_fixed_size: 0
    .sgpr_count:     16
    .sgpr_spill_count: 0
    .symbol:         bluestein_single_back_len1870_dim1_sp_op_CI_CI.kd
    .uniform_work_group_size: 1
    .uses_dynamic_stack: false
    .vgpr_count:     227
    .vgpr_spill_count: 0
    .wavefront_size: 32
    .workgroup_processor_mode: 1
amdhsa.target:   amdgcn-amd-amdhsa--gfx1201
amdhsa.version:
  - 1
  - 2
...

	.end_amdgpu_metadata
